;; amdgpu-corpus repo=ROCm/rocFFT kind=compiled arch=gfx1201 opt=O3
	.text
	.amdgcn_target "amdgcn-amd-amdhsa--gfx1201"
	.amdhsa_code_object_version 6
	.protected	fft_rtc_back_len1638_factors_13_2_3_7_3_wgs_182_tpt_182_halfLds_dp_op_CI_CI_unitstride_sbrr_R2C_dirReg ; -- Begin function fft_rtc_back_len1638_factors_13_2_3_7_3_wgs_182_tpt_182_halfLds_dp_op_CI_CI_unitstride_sbrr_R2C_dirReg
	.globl	fft_rtc_back_len1638_factors_13_2_3_7_3_wgs_182_tpt_182_halfLds_dp_op_CI_CI_unitstride_sbrr_R2C_dirReg
	.p2align	8
	.type	fft_rtc_back_len1638_factors_13_2_3_7_3_wgs_182_tpt_182_halfLds_dp_op_CI_CI_unitstride_sbrr_R2C_dirReg,@function
fft_rtc_back_len1638_factors_13_2_3_7_3_wgs_182_tpt_182_halfLds_dp_op_CI_CI_unitstride_sbrr_R2C_dirReg: ; @fft_rtc_back_len1638_factors_13_2_3_7_3_wgs_182_tpt_182_halfLds_dp_op_CI_CI_unitstride_sbrr_R2C_dirReg
; %bb.0:
	s_clause 0x2
	s_load_b128 s[8:11], s[0:1], 0x0
	s_load_b128 s[4:7], s[0:1], 0x58
	;; [unrolled: 1-line block ×3, first 2 shown]
	v_mul_u32_u24_e32 v1, 0x169, v0
	v_mov_b32_e32 v3, 0
	s_delay_alu instid0(VALU_DEP_2) | instskip(NEXT) | instid1(VALU_DEP_1)
	v_lshrrev_b32_e32 v1, 16, v1
	v_add_nc_u32_e32 v5, ttmp9, v1
	v_mov_b32_e32 v1, 0
	v_mov_b32_e32 v2, 0
	;; [unrolled: 1-line block ×3, first 2 shown]
	s_wait_kmcnt 0x0
	v_cmp_lt_u64_e64 s2, s[10:11], 2
	s_delay_alu instid0(VALU_DEP_1)
	s_and_b32 vcc_lo, exec_lo, s2
	s_cbranch_vccnz .LBB0_8
; %bb.1:
	s_load_b64 s[2:3], s[0:1], 0x10
	v_mov_b32_e32 v1, 0
	v_mov_b32_e32 v2, 0
	s_add_nc_u64 s[16:17], s[14:15], 8
	s_add_nc_u64 s[18:19], s[12:13], 8
	s_mov_b64 s[20:21], 1
	s_delay_alu instid0(VALU_DEP_1)
	v_dual_mov_b32 v73, v2 :: v_dual_mov_b32 v72, v1
	s_wait_kmcnt 0x0
	s_add_nc_u64 s[22:23], s[2:3], 8
	s_mov_b32 s3, 0
.LBB0_2:                                ; =>This Inner Loop Header: Depth=1
	s_load_b64 s[24:25], s[22:23], 0x0
                                        ; implicit-def: $vgpr76_vgpr77
	s_mov_b32 s2, exec_lo
	s_wait_kmcnt 0x0
	v_or_b32_e32 v4, s25, v6
	s_delay_alu instid0(VALU_DEP_1)
	v_cmpx_ne_u64_e32 0, v[3:4]
	s_wait_alu 0xfffe
	s_xor_b32 s26, exec_lo, s2
	s_cbranch_execz .LBB0_4
; %bb.3:                                ;   in Loop: Header=BB0_2 Depth=1
	s_cvt_f32_u32 s2, s24
	s_cvt_f32_u32 s27, s25
	s_sub_nc_u64 s[30:31], 0, s[24:25]
	s_wait_alu 0xfffe
	s_delay_alu instid0(SALU_CYCLE_1) | instskip(SKIP_1) | instid1(SALU_CYCLE_2)
	s_fmamk_f32 s2, s27, 0x4f800000, s2
	s_wait_alu 0xfffe
	v_s_rcp_f32 s2, s2
	s_delay_alu instid0(TRANS32_DEP_1) | instskip(SKIP_1) | instid1(SALU_CYCLE_2)
	s_mul_f32 s2, s2, 0x5f7ffffc
	s_wait_alu 0xfffe
	s_mul_f32 s27, s2, 0x2f800000
	s_wait_alu 0xfffe
	s_delay_alu instid0(SALU_CYCLE_2) | instskip(SKIP_1) | instid1(SALU_CYCLE_2)
	s_trunc_f32 s27, s27
	s_wait_alu 0xfffe
	s_fmamk_f32 s2, s27, 0xcf800000, s2
	s_cvt_u32_f32 s29, s27
	s_wait_alu 0xfffe
	s_delay_alu instid0(SALU_CYCLE_1) | instskip(SKIP_1) | instid1(SALU_CYCLE_2)
	s_cvt_u32_f32 s28, s2
	s_wait_alu 0xfffe
	s_mul_u64 s[34:35], s[30:31], s[28:29]
	s_wait_alu 0xfffe
	s_mul_hi_u32 s37, s28, s35
	s_mul_i32 s36, s28, s35
	s_mul_hi_u32 s2, s28, s34
	s_mul_i32 s33, s29, s34
	s_wait_alu 0xfffe
	s_add_nc_u64 s[36:37], s[2:3], s[36:37]
	s_mul_hi_u32 s27, s29, s34
	s_mul_hi_u32 s38, s29, s35
	s_add_co_u32 s2, s36, s33
	s_wait_alu 0xfffe
	s_add_co_ci_u32 s2, s37, s27
	s_mul_i32 s34, s29, s35
	s_add_co_ci_u32 s35, s38, 0
	s_wait_alu 0xfffe
	s_add_nc_u64 s[34:35], s[2:3], s[34:35]
	s_wait_alu 0xfffe
	v_add_co_u32 v4, s2, s28, s34
	s_delay_alu instid0(VALU_DEP_1) | instskip(SKIP_1) | instid1(VALU_DEP_1)
	s_cmp_lg_u32 s2, 0
	s_add_co_ci_u32 s29, s29, s35
	v_readfirstlane_b32 s28, v4
	s_wait_alu 0xfffe
	s_delay_alu instid0(VALU_DEP_1)
	s_mul_u64 s[30:31], s[30:31], s[28:29]
	s_wait_alu 0xfffe
	s_mul_hi_u32 s35, s28, s31
	s_mul_i32 s34, s28, s31
	s_mul_hi_u32 s2, s28, s30
	s_mul_i32 s33, s29, s30
	s_wait_alu 0xfffe
	s_add_nc_u64 s[34:35], s[2:3], s[34:35]
	s_mul_hi_u32 s27, s29, s30
	s_mul_hi_u32 s28, s29, s31
	s_wait_alu 0xfffe
	s_add_co_u32 s2, s34, s33
	s_add_co_ci_u32 s2, s35, s27
	s_mul_i32 s30, s29, s31
	s_add_co_ci_u32 s31, s28, 0
	s_wait_alu 0xfffe
	s_add_nc_u64 s[30:31], s[2:3], s[30:31]
	s_wait_alu 0xfffe
	v_add_co_u32 v4, s2, v4, s30
	s_delay_alu instid0(VALU_DEP_1) | instskip(SKIP_1) | instid1(VALU_DEP_1)
	s_cmp_lg_u32 s2, 0
	s_add_co_ci_u32 s2, s29, s31
	v_mul_hi_u32 v13, v5, v4
	s_wait_alu 0xfffe
	v_mad_co_u64_u32 v[7:8], null, v5, s2, 0
	v_mad_co_u64_u32 v[9:10], null, v6, v4, 0
	;; [unrolled: 1-line block ×3, first 2 shown]
	s_delay_alu instid0(VALU_DEP_3) | instskip(SKIP_1) | instid1(VALU_DEP_4)
	v_add_co_u32 v4, vcc_lo, v13, v7
	s_wait_alu 0xfffd
	v_add_co_ci_u32_e32 v7, vcc_lo, 0, v8, vcc_lo
	s_delay_alu instid0(VALU_DEP_2) | instskip(SKIP_1) | instid1(VALU_DEP_2)
	v_add_co_u32 v4, vcc_lo, v4, v9
	s_wait_alu 0xfffd
	v_add_co_ci_u32_e32 v4, vcc_lo, v7, v10, vcc_lo
	s_wait_alu 0xfffd
	v_add_co_ci_u32_e32 v7, vcc_lo, 0, v12, vcc_lo
	s_delay_alu instid0(VALU_DEP_2) | instskip(SKIP_1) | instid1(VALU_DEP_2)
	v_add_co_u32 v4, vcc_lo, v4, v11
	s_wait_alu 0xfffd
	v_add_co_ci_u32_e32 v9, vcc_lo, 0, v7, vcc_lo
	s_delay_alu instid0(VALU_DEP_2) | instskip(SKIP_1) | instid1(VALU_DEP_3)
	v_mul_lo_u32 v10, s25, v4
	v_mad_co_u64_u32 v[7:8], null, s24, v4, 0
	v_mul_lo_u32 v11, s24, v9
	s_delay_alu instid0(VALU_DEP_2) | instskip(NEXT) | instid1(VALU_DEP_2)
	v_sub_co_u32 v7, vcc_lo, v5, v7
	v_add3_u32 v8, v8, v11, v10
	s_delay_alu instid0(VALU_DEP_1) | instskip(SKIP_1) | instid1(VALU_DEP_1)
	v_sub_nc_u32_e32 v10, v6, v8
	s_wait_alu 0xfffd
	v_subrev_co_ci_u32_e64 v10, s2, s25, v10, vcc_lo
	v_add_co_u32 v11, s2, v4, 2
	s_wait_alu 0xf1ff
	v_add_co_ci_u32_e64 v12, s2, 0, v9, s2
	v_sub_co_u32 v13, s2, v7, s24
	v_sub_co_ci_u32_e32 v8, vcc_lo, v6, v8, vcc_lo
	s_wait_alu 0xf1ff
	v_subrev_co_ci_u32_e64 v10, s2, 0, v10, s2
	s_delay_alu instid0(VALU_DEP_3) | instskip(NEXT) | instid1(VALU_DEP_3)
	v_cmp_le_u32_e32 vcc_lo, s24, v13
	v_cmp_eq_u32_e64 s2, s25, v8
	s_wait_alu 0xfffd
	v_cndmask_b32_e64 v13, 0, -1, vcc_lo
	v_cmp_le_u32_e32 vcc_lo, s25, v10
	s_wait_alu 0xfffd
	v_cndmask_b32_e64 v14, 0, -1, vcc_lo
	v_cmp_le_u32_e32 vcc_lo, s24, v7
	;; [unrolled: 3-line block ×3, first 2 shown]
	s_wait_alu 0xfffd
	v_cndmask_b32_e64 v15, 0, -1, vcc_lo
	v_cmp_eq_u32_e32 vcc_lo, s25, v10
	s_wait_alu 0xf1ff
	s_delay_alu instid0(VALU_DEP_2)
	v_cndmask_b32_e64 v7, v15, v7, s2
	s_wait_alu 0xfffd
	v_cndmask_b32_e32 v10, v14, v13, vcc_lo
	v_add_co_u32 v13, vcc_lo, v4, 1
	s_wait_alu 0xfffd
	v_add_co_ci_u32_e32 v14, vcc_lo, 0, v9, vcc_lo
	s_delay_alu instid0(VALU_DEP_3) | instskip(SKIP_1) | instid1(VALU_DEP_2)
	v_cmp_ne_u32_e32 vcc_lo, 0, v10
	s_wait_alu 0xfffd
	v_cndmask_b32_e32 v8, v14, v12, vcc_lo
	v_cndmask_b32_e32 v10, v13, v11, vcc_lo
	v_cmp_ne_u32_e32 vcc_lo, 0, v7
	s_wait_alu 0xfffd
	s_delay_alu instid0(VALU_DEP_2)
	v_dual_cndmask_b32 v77, v9, v8 :: v_dual_cndmask_b32 v76, v4, v10
.LBB0_4:                                ;   in Loop: Header=BB0_2 Depth=1
	s_wait_alu 0xfffe
	s_and_not1_saveexec_b32 s2, s26
	s_cbranch_execz .LBB0_6
; %bb.5:                                ;   in Loop: Header=BB0_2 Depth=1
	v_cvt_f32_u32_e32 v4, s24
	s_sub_co_i32 s26, 0, s24
	v_mov_b32_e32 v77, v3
	s_delay_alu instid0(VALU_DEP_2) | instskip(NEXT) | instid1(TRANS32_DEP_1)
	v_rcp_iflag_f32_e32 v4, v4
	v_mul_f32_e32 v4, 0x4f7ffffe, v4
	s_delay_alu instid0(VALU_DEP_1) | instskip(SKIP_1) | instid1(VALU_DEP_1)
	v_cvt_u32_f32_e32 v4, v4
	s_wait_alu 0xfffe
	v_mul_lo_u32 v7, s26, v4
	s_delay_alu instid0(VALU_DEP_1) | instskip(NEXT) | instid1(VALU_DEP_1)
	v_mul_hi_u32 v7, v4, v7
	v_add_nc_u32_e32 v4, v4, v7
	s_delay_alu instid0(VALU_DEP_1) | instskip(NEXT) | instid1(VALU_DEP_1)
	v_mul_hi_u32 v4, v5, v4
	v_mul_lo_u32 v7, v4, s24
	v_add_nc_u32_e32 v8, 1, v4
	s_delay_alu instid0(VALU_DEP_2) | instskip(NEXT) | instid1(VALU_DEP_1)
	v_sub_nc_u32_e32 v7, v5, v7
	v_subrev_nc_u32_e32 v9, s24, v7
	v_cmp_le_u32_e32 vcc_lo, s24, v7
	s_wait_alu 0xfffd
	s_delay_alu instid0(VALU_DEP_2) | instskip(NEXT) | instid1(VALU_DEP_1)
	v_dual_cndmask_b32 v7, v7, v9 :: v_dual_cndmask_b32 v4, v4, v8
	v_cmp_le_u32_e32 vcc_lo, s24, v7
	s_delay_alu instid0(VALU_DEP_2) | instskip(SKIP_1) | instid1(VALU_DEP_1)
	v_add_nc_u32_e32 v8, 1, v4
	s_wait_alu 0xfffd
	v_cndmask_b32_e32 v76, v4, v8, vcc_lo
.LBB0_6:                                ;   in Loop: Header=BB0_2 Depth=1
	s_wait_alu 0xfffe
	s_or_b32 exec_lo, exec_lo, s2
	v_mul_lo_u32 v4, v77, s24
	s_delay_alu instid0(VALU_DEP_2)
	v_mul_lo_u32 v9, v76, s25
	s_load_b64 s[26:27], s[18:19], 0x0
	v_mad_co_u64_u32 v[7:8], null, v76, s24, 0
	s_load_b64 s[24:25], s[16:17], 0x0
	s_add_nc_u64 s[20:21], s[20:21], 1
	s_add_nc_u64 s[16:17], s[16:17], 8
	s_wait_alu 0xfffe
	v_cmp_ge_u64_e64 s2, s[20:21], s[10:11]
	s_add_nc_u64 s[18:19], s[18:19], 8
	s_add_nc_u64 s[22:23], s[22:23], 8
	v_add3_u32 v4, v8, v9, v4
	v_sub_co_u32 v5, vcc_lo, v5, v7
	s_wait_alu 0xfffd
	s_delay_alu instid0(VALU_DEP_2) | instskip(SKIP_2) | instid1(VALU_DEP_1)
	v_sub_co_ci_u32_e32 v4, vcc_lo, v6, v4, vcc_lo
	s_and_b32 vcc_lo, exec_lo, s2
	s_wait_kmcnt 0x0
	v_mul_lo_u32 v6, s26, v4
	v_mul_lo_u32 v7, s27, v5
	v_mad_co_u64_u32 v[1:2], null, s26, v5, v[1:2]
	v_mul_lo_u32 v4, s24, v4
	v_mul_lo_u32 v8, s25, v5
	v_mad_co_u64_u32 v[72:73], null, s24, v5, v[72:73]
	s_delay_alu instid0(VALU_DEP_4) | instskip(NEXT) | instid1(VALU_DEP_2)
	v_add3_u32 v2, v7, v2, v6
	v_add3_u32 v73, v8, v73, v4
	s_wait_alu 0xfffe
	s_cbranch_vccnz .LBB0_9
; %bb.7:                                ;   in Loop: Header=BB0_2 Depth=1
	v_dual_mov_b32 v5, v76 :: v_dual_mov_b32 v6, v77
	s_branch .LBB0_2
.LBB0_8:
	v_dual_mov_b32 v73, v2 :: v_dual_mov_b32 v72, v1
	v_dual_mov_b32 v77, v6 :: v_dual_mov_b32 v76, v5
.LBB0_9:
	s_load_b64 s[0:1], s[0:1], 0x28
	v_mul_hi_u32 v3, 0x1681682, v0
                                        ; implicit-def: $vgpr74
	s_wait_kmcnt 0x0
	s_delay_alu instid0(VALU_DEP_2) | instskip(SKIP_1) | instid1(VALU_DEP_1)
	v_cmp_gt_u64_e32 vcc_lo, s[0:1], v[76:77]
	v_cmp_le_u64_e64 s0, s[0:1], v[76:77]
	s_and_saveexec_b32 s1, s0
	s_wait_alu 0xfffe
	s_xor_b32 s0, exec_lo, s1
; %bb.10:
	s_delay_alu instid0(VALU_DEP_3) | instskip(NEXT) | instid1(VALU_DEP_1)
	v_mul_u32_u24_e32 v1, 0xb6, v3
                                        ; implicit-def: $vgpr3
	v_sub_nc_u32_e32 v74, v0, v1
                                        ; implicit-def: $vgpr0
                                        ; implicit-def: $vgpr1_vgpr2
; %bb.11:
	s_wait_alu 0xfffe
	s_and_not1_saveexec_b32 s1, s0
	s_cbranch_execz .LBB0_13
; %bb.12:
	s_lshl_b64 s[2:3], s[10:11], 3
	v_lshlrev_b64_e32 v[1:2], 4, v[1:2]
	s_wait_alu 0xfffe
	s_add_nc_u64 s[2:3], s[12:13], s[2:3]
	s_load_b64 s[2:3], s[2:3], 0x0
	s_wait_kmcnt 0x0
	v_mul_lo_u32 v6, s3, v76
	v_mul_lo_u32 v7, s2, v77
	v_mad_co_u64_u32 v[4:5], null, s2, v76, 0
	s_delay_alu instid0(VALU_DEP_1) | instskip(SKIP_1) | instid1(VALU_DEP_2)
	v_add3_u32 v5, v5, v7, v6
	v_mul_u32_u24_e32 v6, 0xb6, v3
	v_lshlrev_b64_e32 v[3:4], 4, v[4:5]
	s_delay_alu instid0(VALU_DEP_2) | instskip(NEXT) | instid1(VALU_DEP_1)
	v_sub_nc_u32_e32 v74, v0, v6
	v_lshlrev_b32_e32 v36, 4, v74
	s_delay_alu instid0(VALU_DEP_3) | instskip(SKIP_1) | instid1(VALU_DEP_4)
	v_add_co_u32 v0, s0, s4, v3
	s_wait_alu 0xf1ff
	v_add_co_ci_u32_e64 v3, s0, s5, v4, s0
	s_delay_alu instid0(VALU_DEP_2) | instskip(SKIP_1) | instid1(VALU_DEP_2)
	v_add_co_u32 v0, s0, v0, v1
	s_wait_alu 0xf1ff
	v_add_co_ci_u32_e64 v1, s0, v3, v2, s0
	s_delay_alu instid0(VALU_DEP_2) | instskip(SKIP_1) | instid1(VALU_DEP_2)
	v_add_co_u32 v32, s0, v0, v36
	s_wait_alu 0xf1ff
	v_add_co_ci_u32_e64 v33, s0, 0, v1, s0
	s_clause 0x8
	global_load_b128 v[0:3], v[32:33], off
	global_load_b128 v[4:7], v[32:33], off offset:2912
	global_load_b128 v[8:11], v[32:33], off offset:5824
	;; [unrolled: 1-line block ×8, first 2 shown]
	v_add_nc_u32_e32 v36, 0, v36
	s_wait_loadcnt 0x8
	ds_store_b128 v36, v[0:3]
	s_wait_loadcnt 0x7
	ds_store_b128 v36, v[4:7] offset:2912
	s_wait_loadcnt 0x6
	ds_store_b128 v36, v[8:11] offset:5824
	;; [unrolled: 2-line block ×8, first 2 shown]
.LBB0_13:
	s_wait_alu 0xfffe
	s_or_b32 exec_lo, exec_lo, s1
	v_lshl_add_u32 v246, v74, 4, 0
	global_wb scope:SCOPE_SE
	s_wait_dscnt 0x0
	s_barrier_signal -1
	s_barrier_wait -1
	global_inv scope:SCOPE_SE
	ds_load_b128 v[12:15], v246 offset:24192
	ds_load_b128 v[16:19], v246 offset:2016
	ds_load_b128 v[40:43], v246
	ds_load_b128 v[24:27], v246 offset:22176
	ds_load_b128 v[48:51], v246 offset:4032
	s_mov_b32 s34, 0x4267c47c
	s_mov_b32 s18, 0xe00740e9
	;; [unrolled: 1-line block ×4, first 2 shown]
	ds_load_b128 v[52:55], v246 offset:6048
	ds_load_b128 v[28:31], v246 offset:20160
	s_mov_b32 s22, 0x42a4c3d2
	s_mov_b32 s4, 0x1ea71119
	;; [unrolled: 1-line block ×8, first 2 shown]
	ds_load_b128 v[36:39], v246 offset:18144
	ds_load_b128 v[56:59], v246 offset:8064
	s_mov_b32 s16, 0x2ef20147
	s_mov_b32 s12, 0xb2365da1
	s_wait_dscnt 0x7
	v_add_f64_e64 v[120:121], v[18:19], -v[14:15]
	v_add_f64_e32 v[112:113], v[18:19], v[14:15]
	v_add_f64_e32 v[118:119], v[16:17], v[12:13]
	s_wait_dscnt 0x4
	v_add_f64_e64 v[104:105], v[50:51], -v[26:27]
	v_add_f64_e64 v[122:123], v[16:17], -v[12:13]
	v_add_f64_e32 v[84:85], v[50:51], v[26:27]
	v_add_f64_e32 v[88:89], v[48:49], v[24:25]
	s_wait_dscnt 0x2
	v_add_f64_e64 v[106:107], v[54:55], -v[30:31]
	v_add_f64_e64 v[100:101], v[48:49], -v[24:25]
	v_add_f64_e32 v[90:91], v[54:55], v[30:31]
	s_mov_b32 s20, 0x93053d00
	s_mov_b32 s24, 0x4bc48dbf
	;; [unrolled: 1-line block ×6, first 2 shown]
	ds_load_b128 v[60:63], v246 offset:10080
	ds_load_b128 v[44:47], v246 offset:16128
	s_wait_dscnt 0x2
	v_add_f64_e64 v[110:111], v[58:59], -v[38:39]
	v_add_f64_e32 v[86:87], v[58:59], v[38:39]
	v_add_f64_e32 v[134:135], v[52:53], v[28:29]
	v_add_f64_e64 v[140:141], v[52:53], -v[28:29]
	s_mov_b32 s28, 0x24c2f84
	s_mov_b32 s30, 0xd0032e0c
	;; [unrolled: 1-line block ×6, first 2 shown]
	v_add_f64_e32 v[98:99], v[56:57], v[36:37]
	v_add_f64_e64 v[144:145], v[56:57], -v[36:37]
	s_mov_b32 s43, 0x3fe5384d
	s_mov_b32 s41, 0x3fddbe06
	;; [unrolled: 1-line block ×3, first 2 shown]
	s_wait_alu 0xfffe
	s_mov_b32 s42, s28
	s_mov_b32 s40, s34
	;; [unrolled: 1-line block ×4, first 2 shown]
	s_wait_dscnt 0x0
	v_add_f64_e64 v[108:109], v[62:63], -v[46:47]
	v_add_f64_e32 v[82:83], v[62:63], v[46:47]
	v_mul_f64_e32 v[114:115], s[34:35], v[120:121]
	v_mul_f64_e32 v[116:117], s[18:19], v[112:113]
	v_mul_f64_e32 v[124:125], s[22:23], v[120:121]
	v_mul_f64_e32 v[4:5], s[22:23], v[104:105]
	v_mul_f64_e32 v[126:127], s[4:5], v[112:113]
	v_mul_f64_e32 v[6:7], s[4:5], v[84:85]
	v_mul_f64_e32 v[128:129], s[26:27], v[120:121]
	v_mul_f64_e32 v[132:133], s[2:3], v[112:113]
	v_mul_f64_e32 v[96:97], s[26:27], v[106:107]
	v_mul_f64_e32 v[102:103], s[2:3], v[90:91]
	v_mul_f64_e32 v[130:131], s[16:17], v[104:105]
	v_mul_f64_e32 v[136:137], s[12:13], v[84:85]
	v_mul_f64_e32 v[148:149], s[24:25], v[104:105]
	v_mul_f64_e32 v[150:151], s[20:21], v[84:85]
	v_mul_f64_e32 v[138:139], s[24:25], v[106:107]
	v_mul_f64_e32 v[142:143], s[20:21], v[90:91]
	v_mul_f64_e32 v[146:147], s[36:37], v[106:107]
	v_mul_f64_e32 v[78:79], s[16:17], v[110:111]
	v_mul_f64_e32 v[80:81], s[12:13], v[86:87]
	v_mul_f64_e32 v[152:153], s[12:13], v[90:91]
	v_mul_f64_e32 v[170:171], s[16:17], v[120:121]
	v_mul_f64_e32 v[172:173], s[12:13], v[112:113]
	v_mul_f64_e32 v[232:233], s[28:29], v[120:121]
	v_mul_f64_e32 v[244:245], s[30:31], v[112:113]
	v_add_f64_e32 v[160:161], v[60:61], v[44:45]
	v_add_f64_e64 v[194:195], v[60:61], -v[44:45]
	v_mul_f64_e32 v[176:177], s[42:43], v[110:111]
	v_mul_f64_e32 v[180:181], s[30:31], v[86:87]
	;; [unrolled: 1-line block ×12, first 2 shown]
	v_fma_f64 v[0:1], v[118:119], s[18:19], -v[114:115]
	v_fma_f64 v[2:3], v[122:123], s[34:35], v[116:117]
	v_fma_f64 v[8:9], v[118:119], s[4:5], -v[124:125]
	scratch_store_b64 off, v[4:5], off      ; 8-byte Folded Spill
	v_fma_f64 v[4:5], v[88:89], s[4:5], -v[4:5]
	scratch_store_b64 off, v[6:7], off offset:8 ; 8-byte Folded Spill
	v_fma_f64 v[6:7], v[100:101], s[22:23], v[6:7]
	v_fma_f64 v[10:11], v[122:123], s[22:23], v[126:127]
	v_fma_f64 v[20:21], v[118:119], s[2:3], -v[128:129]
	v_fma_f64 v[22:23], v[122:123], s[26:27], v[132:133]
	v_fma_f64 v[32:33], v[134:135], s[2:3], -v[96:97]
	;; [unrolled: 2-line block ×3, first 2 shown]
	v_fma_f64 v[164:165], v[100:101], s[24:25], v[150:151]
	ds_load_b128 v[68:71], v246 offset:12096
	ds_load_b128 v[64:67], v246 offset:14112
	v_mul_f64_e32 v[174:175], s[38:39], v[108:109]
	v_mul_f64_e32 v[178:179], s[2:3], v[82:83]
	v_fma_f64 v[188:189], v[98:99], s[12:13], -v[78:79]
	v_fma_f64 v[192:193], v[144:145], s[16:17], v[80:81]
	v_mul_f64_e32 v[182:183], s[22:23], v[108:109]
	v_fma_f64 v[196:197], v[118:119], s[12:13], -v[170:171]
	v_fma_f64 v[200:201], v[122:123], s[16:17], v[172:173]
	v_fma_f64 v[202:203], v[118:119], s[30:31], -v[232:233]
	v_fma_f64 v[204:205], v[122:123], s[28:29], v[244:245]
	v_mul_f64_e32 v[186:187], s[4:5], v[82:83]
	v_mul_f64_e32 v[236:237], s[22:23], v[106:107]
	;; [unrolled: 1-line block ×3, first 2 shown]
	v_fma_f64 v[214:215], v[98:99], s[30:31], -v[176:177]
	s_mov_b32 s44, s24
	s_clause 0x1
	scratch_store_b64 off, v[78:79], off offset:16
	scratch_store_b64 off, v[80:81], off offset:24
	v_fma_f64 v[226:227], v[100:101], s[42:43], v[230:231]
	v_fma_f64 v[242:243], v[88:89], s[2:3], -v[234:235]
	v_fma_f64 v[247:248], v[100:101], s[38:39], v[238:239]
	s_wait_dscnt 0x0
	v_add_f64_e64 v[168:169], v[70:71], -v[66:67]
	v_add_f64_e32 v[154:155], v[70:71], v[66:67]
	v_add_f64_e32 v[166:167], v[68:69], v[64:65]
	v_add_f64_e64 v[190:191], v[68:69], -v[64:65]
	v_add_f64_e32 v[0:1], v[40:41], v[0:1]
	v_add_f64_e32 v[2:3], v[42:43], v[2:3]
	;; [unrolled: 1-line block ×3, first 2 shown]
	v_fma_f64 v[206:207], v[160:161], s[30:31], -v[156:157]
	v_fma_f64 v[208:209], v[194:195], s[28:29], v[158:159]
	v_mul_f64_e32 v[210:211], s[26:27], v[110:111]
	v_mul_f64_e32 v[212:213], s[2:3], v[86:87]
	v_add_f64_e32 v[10:11], v[42:43], v[10:11]
	v_add_f64_e32 v[20:21], v[40:41], v[20:21]
	v_add_f64_e32 v[22:23], v[42:43], v[22:23]
	v_mul_f64_e32 v[224:225], s[44:45], v[110:111]
	s_mov_b32 s47, 0x3fea55e2
	s_mov_b32 s46, s22
	s_lshl_b64 s[10:11], s[10:11], 3
	s_mov_b32 s1, exec_lo
	global_wb scope:SCOPE_SE
	s_wait_storecnt 0x0
	v_fma_f64 v[253:254], v[194:195], s[38:39], v[178:179]
	s_barrier_signal -1
	s_barrier_wait -1
	global_inv scope:SCOPE_SE
	v_add_f64_e32 v[216:217], v[40:41], v[196:197]
	v_add_f64_e32 v[228:229], v[42:43], v[200:201]
	;; [unrolled: 1-line block ×4, first 2 shown]
	v_fma_f64 v[78:79], v[134:135], s[4:5], -v[236:237]
	v_fma_f64 v[92:93], v[140:141], s[22:23], v[240:241]
	v_mul_f64_e32 v[196:197], s[28:29], v[168:169]
	v_mul_f64_e32 v[200:201], s[30:31], v[154:155]
	v_add_f64_e32 v[0:1], v[4:5], v[0:1]
	v_add_f64_e32 v[2:3], v[6:7], v[2:3]
	v_fma_f64 v[4:5], v[88:89], s[12:13], -v[130:131]
	v_fma_f64 v[6:7], v[100:101], s[16:17], v[136:137]
	v_add_f64_e32 v[20:21], v[162:163], v[20:21]
	v_add_f64_e32 v[22:23], v[164:165], v[22:23]
	v_mul_f64_e32 v[162:163], s[24:25], v[168:169]
	v_mul_f64_e32 v[164:165], s[20:21], v[154:155]
	v_add_f64_e32 v[228:229], v[226:227], v[228:229]
	v_add_f64_e32 v[80:81], v[242:243], v[202:203]
	;; [unrolled: 1-line block ×3, first 2 shown]
	v_mul_f64_e32 v[242:243], s[20:21], v[86:87]
	v_mul_f64_e32 v[202:203], s[44:45], v[108:109]
	;; [unrolled: 1-line block ×3, first 2 shown]
	v_add_f64_e32 v[0:1], v[32:33], v[0:1]
	v_add_f64_e32 v[2:3], v[34:35], v[2:3]
	v_fma_f64 v[32:33], v[134:135], s[20:21], -v[138:139]
	v_add_f64_e32 v[4:5], v[4:5], v[8:9]
	v_fma_f64 v[8:9], v[140:141], s[24:25], v[142:143]
	v_add_f64_e32 v[6:7], v[6:7], v[10:11]
	v_fma_f64 v[10:11], v[134:135], s[12:13], -v[146:147]
	v_fma_f64 v[34:35], v[140:141], s[36:37], v[152:153]
	v_fma_f64 v[249:250], v[166:167], s[20:21], -v[162:163]
	v_fma_f64 v[251:252], v[190:191], s[24:25], v[164:165]
	v_add_f64_e32 v[78:79], v[78:79], v[80:81]
	v_fma_f64 v[80:81], v[98:99], s[20:21], -v[224:225]
	v_add_f64_e32 v[92:93], v[92:93], v[204:205]
	v_fma_f64 v[94:95], v[144:145], s[44:45], v[242:243]
	v_mul_f64_e32 v[204:205], s[46:47], v[168:169]
	v_add_f64_e32 v[0:1], v[188:189], v[0:1]
	v_add_f64_e32 v[2:3], v[192:193], v[2:3]
	v_mul_f64_e32 v[188:189], s[40:41], v[168:169]
	v_add_f64_e32 v[4:5], v[32:33], v[4:5]
	v_fma_f64 v[32:33], v[144:145], s[42:43], v[180:181]
	v_add_f64_e32 v[6:7], v[8:9], v[6:7]
	v_fma_f64 v[8:9], v[98:99], s[18:19], -v[184:185]
	v_add_f64_e32 v[10:11], v[10:11], v[20:21]
	v_fma_f64 v[20:21], v[144:145], s[40:41], v[198:199]
	v_add_f64_e32 v[22:23], v[34:35], v[22:23]
	v_fma_f64 v[34:35], v[88:89], s[30:31], -v[218:219]
	v_mul_f64_e32 v[192:193], s[18:19], v[154:155]
	v_add_f64_e32 v[78:79], v[80:81], v[78:79]
	v_fma_f64 v[80:81], v[194:195], s[40:41], v[226:227]
	v_add_f64_e32 v[92:93], v[94:95], v[92:93]
	v_add_f64_e32 v[0:1], v[206:207], v[0:1]
	;; [unrolled: 1-line block ×3, first 2 shown]
	v_fma_f64 v[208:209], v[160:161], s[2:3], -v[174:175]
	v_add_f64_e32 v[4:5], v[214:215], v[4:5]
	v_mul_f64_e32 v[206:207], s[20:21], v[82:83]
	v_add_f64_e32 v[6:7], v[32:33], v[6:7]
	v_fma_f64 v[32:33], v[160:161], s[4:5], -v[182:183]
	v_add_f64_e32 v[8:9], v[8:9], v[10:11]
	v_fma_f64 v[10:11], v[194:195], s[22:23], v[186:187]
	v_add_f64_e32 v[20:21], v[20:21], v[22:23]
	v_fma_f64 v[22:23], v[134:135], s[18:19], -v[220:221]
	v_add_f64_e32 v[34:35], v[34:35], v[216:217]
	v_fma_f64 v[216:217], v[140:141], s[40:41], v[222:223]
	v_mul_f64_e32 v[214:215], s[40:41], v[108:109]
	v_fma_f64 v[247:248], v[166:167], s[18:19], -v[188:189]
	v_add_f64_e32 v[80:81], v[80:81], v[92:93]
	v_add_f64_e32 v[0:1], v[249:250], v[0:1]
	;; [unrolled: 1-line block ×3, first 2 shown]
	v_fma_f64 v[249:250], v[166:167], s[30:31], -v[196:197]
	v_add_f64_e32 v[4:5], v[208:209], v[4:5]
	v_fma_f64 v[208:209], v[190:191], s[40:41], v[192:193]
	v_add_f64_e32 v[6:7], v[253:254], v[6:7]
	v_fma_f64 v[251:252], v[190:191], s[28:29], v[200:201]
	;; [unrolled: 2-line block ×3, first 2 shown]
	v_add_f64_e32 v[20:21], v[10:11], v[20:21]
	v_add_f64_e32 v[22:23], v[22:23], v[34:35]
	v_fma_f64 v[34:35], v[98:99], s[2:3], -v[210:211]
	v_add_f64_e32 v[228:229], v[216:217], v[228:229]
	v_mul_f64_e32 v[216:217], s[16:17], v[168:169]
	v_add_f64_e32 v[8:9], v[247:248], v[4:5]
	v_fma_f64 v[247:248], v[160:161], s[18:19], -v[214:215]
	v_add_f64_e32 v[10:11], v[208:209], v[6:7]
	v_mul_f64_e32 v[208:209], s[4:5], v[154:155]
	v_add_f64_e32 v[4:5], v[249:250], v[32:33]
	v_fma_f64 v[32:33], v[194:195], s[44:45], v[206:207]
	v_add_f64_e32 v[6:7], v[251:252], v[20:21]
	v_fma_f64 v[20:21], v[160:161], s[20:21], -v[202:203]
	v_add_f64_e32 v[22:23], v[34:35], v[22:23]
	v_add_f64_e32 v[34:35], v[253:254], v[228:229]
	v_mul_f64_e32 v[228:229], s[12:13], v[154:155]
	v_add_f64_e32 v[78:79], v[247:248], v[78:79]
	v_fma_f64 v[247:248], v[166:167], s[12:13], -v[216:217]
	v_fma_f64 v[94:95], v[190:191], s[46:47], v[208:209]
	v_add_f64_e32 v[20:21], v[20:21], v[22:23]
	v_fma_f64 v[22:23], v[166:167], s[4:5], -v[204:205]
	v_add_f64_e32 v[34:35], v[32:33], v[34:35]
	v_fma_f64 v[92:93], v[190:191], s[16:17], v[228:229]
	s_delay_alu instid0(VALU_DEP_3) | instskip(NEXT) | instid1(VALU_DEP_3)
	v_add_f64_e32 v[32:33], v[22:23], v[20:21]
	v_add_f64_e32 v[34:35], v[94:95], v[34:35]
	;; [unrolled: 1-line block ×3, first 2 shown]
	s_delay_alu instid0(VALU_DEP_4)
	v_add_f64_e32 v[22:23], v[92:93], v[80:81]
	v_cmpx_gt_u32_e32 0x7e, v74
	s_cbranch_execz .LBB0_15
; %bb.14:
	v_add_f64_e32 v[16:17], v[40:41], v[16:17]
	v_add_f64_e32 v[18:19], v[42:43], v[18:19]
	v_mul_f64_e32 v[80:81], s[2:3], v[118:119]
	v_mul_f64_e32 v[94:95], s[4:5], v[118:119]
	scratch_load_b64 v[247:248], off, off offset:8 th:TH_LOAD_LU ; 8-byte Folded Reload
	v_mul_f64_e32 v[78:79], s[26:27], v[122:123]
	v_mul_f64_e32 v[92:93], s[22:23], v[122:123]
	;; [unrolled: 1-line block ×6, first 2 shown]
	v_add_f64_e32 v[16:17], v[16:17], v[48:49]
	v_add_f64_e32 v[18:19], v[18:19], v[50:51]
	v_mul_f64_e32 v[48:49], s[24:25], v[122:123]
	v_mul_f64_e32 v[50:51], s[24:25], v[120:121]
	;; [unrolled: 1-line block ×3, first 2 shown]
	v_add_f64_e32 v[80:81], v[80:81], v[128:129]
	v_add_f64_e32 v[94:95], v[94:95], v[124:125]
	v_mul_f64_e32 v[124:125], s[16:17], v[100:101]
	v_mul_f64_e32 v[128:129], s[20:21], v[88:89]
	v_add_f64_e64 v[78:79], v[132:133], -v[78:79]
	v_add_f64_e64 v[92:93], v[126:127], -v[92:93]
	v_mul_f64_e32 v[132:133], s[24:25], v[100:101]
	v_mul_f64_e32 v[126:127], s[2:3], v[88:89]
	v_add_f64_e32 v[16:17], v[16:17], v[52:53]
	v_add_f64_e32 v[18:19], v[18:19], v[54:55]
	v_mul_f64_e32 v[52:53], s[28:29], v[122:123]
	v_mul_f64_e32 v[54:55], s[30:31], v[118:119]
	v_add_f64_e32 v[80:81], v[40:41], v[80:81]
	v_add_f64_e32 v[94:95], v[40:41], v[94:95]
	v_add_f64_e64 v[124:125], v[136:137], -v[124:125]
	v_add_f64_e32 v[128:129], v[128:129], v[148:149]
	v_mul_f64_e32 v[136:137], s[42:43], v[144:145]
	v_add_f64_e32 v[78:79], v[42:43], v[78:79]
	v_add_f64_e32 v[92:93], v[42:43], v[92:93]
	v_add_f64_e64 v[132:133], v[150:151], -v[132:133]
	v_mul_f64_e32 v[150:151], s[16:17], v[144:145]
	v_add_f64_e32 v[126:127], v[126:127], v[234:235]
	v_fma_f64 v[234:235], v[134:135], s[30:31], -v[106:107]
	v_fma_f64 v[106:107], v[134:135], s[30:31], v[106:107]
	v_mul_f64_e32 v[148:149], s[30:31], v[98:99]
	v_add_f64_e32 v[16:17], v[16:17], v[56:57]
	v_mul_f64_e32 v[56:57], s[16:17], v[122:123]
	v_add_f64_e32 v[18:19], v[18:19], v[58:59]
	v_mul_f64_e32 v[58:59], s[12:13], v[118:119]
	v_mul_f64_e32 v[122:123], s[18:19], v[118:119]
	v_add_f64_e64 v[52:53], v[244:245], -v[52:53]
	v_add_f64_e32 v[54:55], v[54:55], v[232:233]
	v_mul_f64_e32 v[232:233], s[36:37], v[140:141]
	v_add_f64_e32 v[80:81], v[128:129], v[80:81]
	v_mul_f64_e32 v[244:245], s[22:23], v[140:141]
	v_add_f64_e32 v[16:17], v[16:17], v[60:61]
	v_fma_f64 v[60:61], v[112:113], s[20:21], v[48:49]
	v_fma_f64 v[48:49], v[112:113], s[20:21], -v[48:49]
	v_add_f64_e64 v[112:113], v[116:117], -v[120:121]
	v_mul_f64_e32 v[120:121], s[12:13], v[88:89]
	v_add_f64_e64 v[56:57], v[172:173], -v[56:57]
	v_add_f64_e32 v[18:19], v[18:19], v[62:63]
	v_fma_f64 v[62:63], v[118:119], s[20:21], -v[50:51]
	v_fma_f64 v[50:51], v[118:119], s[20:21], v[50:51]
	v_add_f64_e32 v[58:59], v[58:59], v[170:171]
	v_add_f64_e32 v[114:115], v[122:123], v[114:115]
	v_mul_f64_e32 v[116:117], s[4:5], v[88:89]
	v_mul_f64_e32 v[170:171], s[30:31], v[88:89]
	v_add_f64_e32 v[52:53], v[42:43], v[52:53]
	v_add_f64_e32 v[54:55], v[40:41], v[54:55]
	v_mul_f64_e32 v[118:119], s[22:23], v[100:101]
	v_mul_f64_e32 v[122:123], s[38:39], v[100:101]
	;; [unrolled: 1-line block ×3, first 2 shown]
	v_add_f64_e64 v[240:241], v[240:241], -v[244:245]
	v_add_f64_e64 v[152:153], v[152:153], -v[232:233]
	v_mul_f64_e32 v[244:245], s[20:21], v[98:99]
	v_mul_f64_e32 v[232:233], s[2:3], v[160:161]
	v_add_f64_e32 v[16:17], v[16:17], v[68:69]
	v_add_f64_e32 v[60:61], v[42:43], v[60:61]
	;; [unrolled: 1-line block ×3, first 2 shown]
	v_mul_f64_e32 v[68:69], s[28:29], v[140:141]
	v_add_f64_e32 v[120:121], v[120:121], v[130:131]
	v_mul_f64_e32 v[130:131], s[18:19], v[98:99]
	v_add_f64_e32 v[56:57], v[42:43], v[56:57]
	v_add_f64_e32 v[42:43], v[42:43], v[112:113]
	v_mul_f64_e32 v[112:113], s[4:5], v[134:135]
	v_add_f64_e32 v[62:63], v[40:41], v[62:63]
	v_add_f64_e32 v[50:51], v[40:41], v[50:51]
	;; [unrolled: 1-line block ×5, first 2 shown]
	v_mul_f64_e32 v[218:219], s[40:41], v[144:145]
	v_add_f64_e32 v[18:19], v[18:19], v[70:71]
	v_mul_f64_e32 v[70:71], s[40:41], v[100:101]
	v_mul_f64_e32 v[100:101], s[42:43], v[100:101]
	;; [unrolled: 1-line block ×3, first 2 shown]
	v_add_f64_e64 v[122:123], v[238:239], -v[122:123]
	v_mul_f64_e32 v[238:239], s[20:21], v[134:135]
	v_add_f64_e32 v[146:147], v[172:173], v[146:147]
	v_add_f64_e32 v[54:55], v[126:127], v[54:55]
	v_mul_f64_e32 v[172:173], s[38:39], v[194:195]
	v_add_f64_e32 v[16:17], v[16:17], v[64:65]
	v_mul_f64_e32 v[64:65], s[18:19], v[134:135]
	v_mul_f64_e32 v[134:135], s[2:3], v[134:135]
	v_add_f64_e32 v[128:129], v[130:131], v[184:185]
	v_add_f64_e64 v[130:131], v[180:181], -v[136:137]
	s_clause 0x1
	scratch_load_b64 v[136:137], off, off offset:24 th:TH_LOAD_LU
	scratch_load_b64 v[249:250], off, off th:TH_LOAD_LU
	v_add_f64_e32 v[112:113], v[112:113], v[236:237]
	v_mul_f64_e32 v[236:237], s[44:45], v[144:145]
	v_add_f64_e32 v[58:59], v[170:171], v[58:59]
	v_add_f64_e64 v[126:127], v[198:199], -v[218:219]
	v_add_f64_e32 v[18:19], v[18:19], v[66:67]
	v_fma_f64 v[66:67], v[90:91], s[30:31], v[68:69]
	v_fma_f64 v[68:69], v[90:91], s[30:31], -v[68:69]
	v_fma_f64 v[90:91], v[84:85], s[18:19], v[70:71]
	v_fma_f64 v[70:71], v[84:85], s[18:19], -v[70:71]
	v_fma_f64 v[84:85], v[88:89], s[18:19], -v[104:105]
	v_fma_f64 v[88:89], v[88:89], s[18:19], v[104:105]
	v_mul_f64_e32 v[104:105], s[26:27], v[140:141]
	v_mul_f64_e32 v[140:141], s[24:25], v[140:141]
	v_add_f64_e64 v[100:101], v[230:231], -v[100:101]
	v_add_f64_e64 v[114:115], v[222:223], -v[114:115]
	v_add_f64_e32 v[138:139], v[238:239], v[138:139]
	v_add_f64_e32 v[52:53], v[122:123], v[52:53]
	v_mul_f64_e32 v[230:231], s[12:13], v[98:99]
	v_mul_f64_e32 v[238:239], s[22:23], v[194:195]
	v_mul_f64_e32 v[222:223], s[30:31], v[160:161]
	v_add_f64_e32 v[16:17], v[16:17], v[44:45]
	v_add_f64_e32 v[64:65], v[64:65], v[220:221]
	;; [unrolled: 1-line block ×3, first 2 shown]
	v_mul_f64_e32 v[134:135], s[44:45], v[194:195]
	v_mul_f64_e32 v[44:45], s[18:19], v[160:161]
	;; [unrolled: 1-line block ×3, first 2 shown]
	v_add_f64_e32 v[54:55], v[112:113], v[54:55]
	v_add_f64_e32 v[18:19], v[18:19], v[46:47]
	v_mul_f64_e32 v[46:47], s[40:41], v[194:195]
	v_add_f64_e32 v[60:61], v[90:91], v[60:61]
	v_add_f64_e32 v[48:49], v[70:71], v[48:49]
	;; [unrolled: 1-line block ×5, first 2 shown]
	v_add_f64_e64 v[140:141], v[142:143], -v[140:141]
	v_add_f64_e32 v[56:57], v[100:101], v[56:57]
	v_add_f64_e32 v[84:85], v[120:121], v[94:95]
	;; [unrolled: 1-line block ×3, first 2 shown]
	v_add_f64_e64 v[102:103], v[102:103], -v[104:105]
	v_mul_f64_e32 v[142:143], s[4:5], v[160:161]
	v_mul_f64_e32 v[100:101], s[16:17], v[194:195]
	v_add_f64_e32 v[132:133], v[148:149], v[176:177]
	v_add_f64_e32 v[52:53], v[240:241], v[52:53]
	v_mul_f64_e32 v[104:105], s[20:21], v[160:161]
	v_add_f64_e32 v[120:121], v[244:245], v[224:225]
	v_mul_f64_e32 v[92:93], s[18:19], v[166:167]
	v_mul_f64_e32 v[94:95], s[40:41], v[190:191]
	;; [unrolled: 1-line block ×4, first 2 shown]
	v_add_f64_e32 v[16:17], v[16:17], v[36:37]
	v_add_f64_e32 v[58:59], v[64:65], v[58:59]
	v_mul_f64_e32 v[64:65], s[4:5], v[166:167]
	v_add_f64_e32 v[148:149], v[222:223], v[156:157]
	v_add_f64_e32 v[44:45], v[44:45], v[214:215]
	v_add_f64_e32 v[18:19], v[18:19], v[38:39]
	v_mul_f64_e32 v[38:39], s[30:31], v[166:167]
	v_add_f64_e64 v[46:47], v[226:227], -v[46:47]
	v_add_f64_e32 v[60:61], v[66:67], v[60:61]
	v_add_f64_e32 v[48:49], v[68:69], v[48:49]
	s_wait_loadcnt 0x2
	v_add_f64_e64 v[118:119], v[247:248], -v[118:119]
	v_mul_f64_e32 v[247:248], s[2:3], v[98:99]
	v_add_f64_e32 v[62:63], v[234:235], v[62:63]
	v_add_f64_e32 v[66:67], v[152:153], v[70:71]
	;; [unrolled: 1-line block ×7, first 2 shown]
	v_fma_f64 v[112:113], v[82:83], s[12:13], v[100:101]
	v_fma_f64 v[114:115], v[160:161], s[12:13], -v[108:109]
	v_fma_f64 v[82:83], v[82:83], s[12:13], -v[100:101]
	v_fma_f64 v[100:101], v[160:161], s[12:13], v[108:109]
	v_add_f64_e64 v[108:109], v[206:207], -v[134:135]
	v_add_f64_e64 v[134:135], v[186:187], -v[238:239]
	v_add_f64_e32 v[138:139], v[142:143], v[182:183]
	v_add_f64_e64 v[140:141], v[178:179], -v[172:173]
	v_add_f64_e32 v[142:143], v[232:233], v[174:175]
	v_mul_f64_e32 v[80:81], s[46:47], v[190:191]
	v_mul_f64_e32 v[106:107], s[38:39], v[168:169]
	v_add_f64_e32 v[104:105], v[104:105], v[202:203]
	v_mul_f64_e32 v[84:85], s[12:13], v[166:167]
	v_add_f64_e32 v[54:55], v[120:121], v[54:55]
	v_add_f64_e32 v[16:17], v[16:17], v[28:29]
	v_add_f64_e64 v[146:147], v[158:159], -v[220:221]
	v_add_f64_e64 v[94:95], v[192:193], -v[94:95]
	v_add_f64_e32 v[92:93], v[92:93], v[188:189]
	v_add_f64_e32 v[64:65], v[64:65], v[204:205]
	v_add_f64_e64 v[90:91], v[164:165], -v[90:91]
	v_add_f64_e32 v[88:89], v[88:89], v[162:163]
	v_add_f64_e32 v[18:19], v[18:19], v[30:31]
	;; [unrolled: 1-line block ×3, first 2 shown]
	v_fma_f64 v[118:119], v[98:99], s[4:5], -v[110:111]
	v_fma_f64 v[98:99], v[98:99], s[4:5], v[110:111]
	v_add_f64_e64 v[110:111], v[242:243], -v[236:237]
	v_add_f64_e32 v[124:125], v[247:248], v[210:211]
	v_add_f64_e32 v[66:67], v[126:127], v[66:67]
	v_add_f64_e32 v[68:69], v[130:131], v[68:69]
	v_add_f64_e32 v[70:71], v[132:133], v[70:71]
	v_add_f64_e32 v[78:79], v[128:129], v[78:79]
	v_add_f64_e64 v[80:81], v[208:209], -v[80:81]
	v_add_f64_e32 v[84:85], v[84:85], v[216:217]
	v_add_f64_e32 v[54:55], v[44:45], v[54:55]
	v_add_f64_e32 v[42:43], v[102:103], v[42:43]
	v_mul_f64_e32 v[102:103], s[38:39], v[190:191]
	v_add_f64_e32 v[62:63], v[118:119], v[62:63]
	v_add_f64_e32 v[52:53], v[110:111], v[52:53]
	;; [unrolled: 1-line block ×4, first 2 shown]
	v_fma_f64 v[98:99], v[166:167], s[2:3], v[106:107]
	v_fma_f64 v[30:31], v[154:155], s[2:3], v[102:103]
	v_add_f64_e32 v[46:47], v[46:47], v[52:53]
	v_add_f64_e32 v[58:59], v[104:105], v[58:59]
	v_add_f64_e32 v[50:51], v[100:101], v[50:51]
	s_wait_loadcnt 0x1
	v_add_f64_e64 v[136:137], v[136:137], -v[150:151]
	s_wait_loadcnt 0x0
	v_add_f64_e32 v[116:117], v[116:117], v[249:250]
	v_mul_f64_e32 v[249:250], s[26:27], v[144:145]
	v_mul_f64_e32 v[144:145], s[46:47], v[144:145]
	s_delay_alu instid0(VALU_DEP_4) | instskip(NEXT) | instid1(VALU_DEP_4)
	v_add_f64_e32 v[42:43], v[136:137], v[42:43]
	v_add_f64_e32 v[40:41], v[116:117], v[40:41]
	s_delay_alu instid0(VALU_DEP_4) | instskip(NEXT) | instid1(VALU_DEP_4)
	v_add_f64_e64 v[122:123], v[212:213], -v[249:250]
	v_fma_f64 v[116:117], v[86:87], s[4:5], v[144:145]
	v_fma_f64 v[86:87], v[86:87], s[4:5], -v[144:145]
	scratch_load_b64 v[144:145], off, off offset:16 th:TH_LOAD_LU ; 8-byte Folded Reload
	v_add_f64_e32 v[36:37], v[96:97], v[40:41]
	v_mul_f64_e32 v[96:97], s[16:17], v[190:191]
	v_add_f64_e32 v[60:61], v[116:117], v[60:61]
	v_add_f64_e32 v[56:57], v[122:123], v[56:57]
	v_mul_f64_e32 v[40:41], s[28:29], v[190:191]
	v_add_f64_e32 v[48:49], v[86:87], v[48:49]
	v_fma_f64 v[86:87], v[154:155], s[2:3], -v[102:103]
	v_add_f64_e32 v[102:103], v[38:39], v[196:197]
	v_add_f64_e64 v[96:97], v[228:229], -v[96:97]
	v_add_f64_e32 v[38:39], v[112:113], v[60:61]
	v_add_f64_e32 v[60:61], v[114:115], v[62:63]
	;; [unrolled: 1-line block ×6, first 2 shown]
	v_add_f64_e64 v[40:41], v[200:201], -v[40:41]
	v_add_f64_e32 v[68:69], v[138:139], v[78:79]
	v_add_f64_e32 v[48:49], v[82:83], v[48:49]
	v_add_f64_e32 v[78:79], v[18:19], v[26:27]
	v_add_f64_e32 v[82:83], v[16:17], v[24:25]
	v_add_f64_e32 v[70:71], v[146:147], v[42:43]
	v_add_f64_e32 v[24:25], v[98:99], v[50:51]
	v_add_f64_e32 v[18:19], v[30:31], v[38:39]
	v_add_f64_e32 v[30:31], v[96:97], v[46:47]
	v_add_f64_e32 v[38:39], v[80:81], v[52:53]
	v_mad_u32_u24 v52, 0xc0, v74, v246
	v_add_f64_e32 v[46:47], v[94:95], v[62:63]
	v_add_f64_e32 v[44:45], v[92:93], v[66:67]
	;; [unrolled: 1-line block ×8, first 2 shown]
	s_wait_loadcnt 0x0
	v_add_f64_e32 v[144:145], v[230:231], v[144:145]
	s_delay_alu instid0(VALU_DEP_1) | instskip(SKIP_1) | instid1(VALU_DEP_2)
	v_add_f64_e32 v[28:29], v[144:145], v[36:37]
	v_fma_f64 v[36:37], v[166:167], s[2:3], -v[106:107]
	v_add_f64_e32 v[100:101], v[148:149], v[28:29]
	s_delay_alu instid0(VALU_DEP_2) | instskip(SKIP_2) | instid1(VALU_DEP_4)
	v_add_f64_e32 v[16:17], v[36:37], v[60:61]
	v_add_f64_e32 v[36:37], v[64:65], v[58:59]
	;; [unrolled: 1-line block ×4, first 2 shown]
	ds_store_b128 v52, v[20:23] offset:128
	ds_store_b128 v52, v[32:35] offset:144
	;; [unrolled: 1-line block ×10, first 2 shown]
	ds_store_b128 v52, v[12:15]
	ds_store_b128 v52, v[48:51] offset:16
	ds_store_b128 v52, v[0:3] offset:192
.LBB0_15:
	s_wait_alu 0xfffe
	s_or_b32 exec_lo, exec_lo, s1
	global_wb scope:SCOPE_SE
	s_wait_dscnt 0x0
	s_barrier_signal -1
	s_barrier_wait -1
	global_inv scope:SCOPE_SE
	ds_load_b128 v[16:19], v246
	ds_load_b128 v[24:27], v246 offset:2912
	ds_load_b128 v[40:43], v246 offset:13104
	;; [unrolled: 1-line block ×7, first 2 shown]
	v_cmp_gt_u32_e64 s0, 0x5b, v74
	s_add_nc_u64 s[2:3], s[14:15], s[10:11]
	s_delay_alu instid0(VALU_DEP_1)
	s_and_saveexec_b32 s1, s0
	s_cbranch_execz .LBB0_17
; %bb.16:
	ds_load_b128 v[20:23], v246 offset:11648
	ds_load_b128 v[32:35], v246 offset:24752
.LBB0_17:
	s_wait_alu 0xfffe
	s_or_b32 exec_lo, exec_lo, s1
	v_add_nc_u32_e32 v57, 0xb6, v74
	v_add_nc_u32_e32 v56, 0x16c, v74
	v_add_nc_u32_e32 v55, 0x222, v74
	v_and_b32_e32 v52, 0xff, v74
	s_delay_alu instid0(VALU_DEP_4) | instskip(NEXT) | instid1(VALU_DEP_4)
	v_and_b32_e32 v53, 0xffff, v57
	v_and_b32_e32 v58, 0xffff, v56
	s_delay_alu instid0(VALU_DEP_4) | instskip(NEXT) | instid1(VALU_DEP_4)
	v_and_b32_e32 v59, 0xffff, v55
	v_mul_lo_u16 v54, 0x4f, v52
	s_delay_alu instid0(VALU_DEP_4) | instskip(NEXT) | instid1(VALU_DEP_4)
	v_mul_u32_u24_e32 v53, 0x4ec5, v53
	v_mul_u32_u24_e32 v52, 0x4ec5, v58
	s_delay_alu instid0(VALU_DEP_4) | instskip(NEXT) | instid1(VALU_DEP_4)
	v_mul_u32_u24_e32 v58, 0x4ec5, v59
	v_lshrrev_b16 v71, 10, v54
	s_delay_alu instid0(VALU_DEP_4) | instskip(NEXT) | instid1(VALU_DEP_4)
	v_lshrrev_b32_e32 v75, 18, v53
	v_lshrrev_b32_e32 v94, 18, v52
	s_delay_alu instid0(VALU_DEP_4) | instskip(NEXT) | instid1(VALU_DEP_4)
	v_lshrrev_b32_e32 v95, 18, v58
	v_mul_lo_u16 v59, v71, 13
	s_delay_alu instid0(VALU_DEP_4) | instskip(NEXT) | instid1(VALU_DEP_4)
	v_mul_lo_u16 v58, v75, 13
	v_mul_lo_u16 v60, v94, 13
	s_delay_alu instid0(VALU_DEP_4) | instskip(NEXT) | instid1(VALU_DEP_4)
	v_mul_lo_u16 v61, v95, 13
	v_sub_nc_u16 v59, v74, v59
	s_delay_alu instid0(VALU_DEP_4) | instskip(NEXT) | instid1(VALU_DEP_4)
	v_sub_nc_u16 v58, v57, v58
	v_sub_nc_u16 v60, v56, v60
	s_delay_alu instid0(VALU_DEP_4) | instskip(NEXT) | instid1(VALU_DEP_4)
	v_sub_nc_u16 v55, v55, v61
	v_and_b32_e32 v59, 0xff, v59
	s_delay_alu instid0(VALU_DEP_4) | instskip(NEXT) | instid1(VALU_DEP_4)
	v_and_b32_e32 v58, 0xffff, v58
	v_and_b32_e32 v60, 0xffff, v60
	s_delay_alu instid0(VALU_DEP_4) | instskip(NEXT) | instid1(VALU_DEP_4)
	v_and_b32_e32 v55, 0xffff, v55
	v_lshlrev_b32_e32 v96, 4, v59
	s_delay_alu instid0(VALU_DEP_4) | instskip(NEXT) | instid1(VALU_DEP_4)
	v_lshlrev_b32_e32 v97, 4, v58
	v_lshlrev_b32_e32 v98, 4, v60
	s_delay_alu instid0(VALU_DEP_4)
	v_lshlrev_b32_e32 v99, 4, v55
	v_add_nc_u32_e32 v58, 0x2d8, v74
	s_clause 0x2
	global_load_b128 v[59:62], v96, s[8:9]
	global_load_b128 v[63:66], v97, s[8:9]
	;; [unrolled: 1-line block ×3, first 2 shown]
	s_load_b64 s[2:3], s[2:3], 0x0
	global_load_b128 v[78:81], v99, s[8:9]
	v_and_b32_e32 v55, 0xffff, v58
	s_delay_alu instid0(VALU_DEP_1) | instskip(NEXT) | instid1(VALU_DEP_1)
	v_mul_u32_u24_e32 v55, 0x4ec5, v55
	v_lshrrev_b32_e32 v55, 18, v55
	s_delay_alu instid0(VALU_DEP_1) | instskip(NEXT) | instid1(VALU_DEP_1)
	v_mul_lo_u16 v82, v55, 13
	v_sub_nc_u16 v58, v58, v82
	s_delay_alu instid0(VALU_DEP_1) | instskip(NEXT) | instid1(VALU_DEP_1)
	v_and_b32_e32 v58, 0xffff, v58
	v_lshlrev_b32_e32 v58, 4, v58
	global_load_b128 v[82:85], v58, s[8:9]
	global_wb scope:SCOPE_SE
	s_wait_loadcnt_dscnt 0x0
	s_wait_kmcnt 0x0
	s_barrier_signal -1
	s_barrier_wait -1
	global_inv scope:SCOPE_SE
	v_mul_f64_e32 v[86:87], v[42:43], v[61:62]
	v_mul_f64_e32 v[61:62], v[40:41], v[61:62]
	;; [unrolled: 1-line block ×8, first 2 shown]
	v_fma_f64 v[40:41], v[40:41], v[59:60], v[86:87]
	v_fma_f64 v[42:43], v[42:43], v[59:60], -v[61:62]
	v_fma_f64 v[59:60], v[36:37], v[63:64], v[88:89]
	v_fma_f64 v[61:62], v[38:39], v[63:64], -v[65:66]
	;; [unrolled: 2-line block ×4, first 2 shown]
	v_mul_f64_e32 v[67:68], v[34:35], v[84:85]
	v_mul_f64_e32 v[69:70], v[32:33], v[84:85]
	v_add_f64_e64 v[36:37], v[16:17], -v[40:41]
	v_add_f64_e64 v[38:39], v[18:19], -v[42:43]
	;; [unrolled: 1-line block ×8, first 2 shown]
	v_fma_f64 v[59:60], v[32:33], v[82:83], v[67:68]
	v_fma_f64 v[61:62], v[34:35], v[82:83], -v[69:70]
	v_fma_f64 v[16:17], v[16:17], 2.0, -v[36:37]
	v_fma_f64 v[18:19], v[18:19], 2.0, -v[38:39]
	;; [unrolled: 1-line block ×8, first 2 shown]
	v_add_f64_e64 v[12:13], v[20:21], -v[59:60]
	v_add_f64_e64 v[14:15], v[22:23], -v[61:62]
	v_and_b32_e32 v59, 0xffff, v71
	v_mul_u32_u24_e32 v60, 0x1a0, v75
	v_mul_u32_u24_e32 v61, 0x1a0, v94
	;; [unrolled: 1-line block ×3, first 2 shown]
	s_delay_alu instid0(VALU_DEP_4) | instskip(NEXT) | instid1(VALU_DEP_4)
	v_mul_u32_u24_e32 v59, 0x1a0, v59
	v_add3_u32 v60, 0, v60, v97
	s_delay_alu instid0(VALU_DEP_4) | instskip(NEXT) | instid1(VALU_DEP_4)
	v_add3_u32 v61, 0, v61, v98
	v_add3_u32 v62, 0, v62, v99
	s_delay_alu instid0(VALU_DEP_4)
	v_add3_u32 v59, 0, v59, v96
	ds_store_b128 v59, v[16:19]
	ds_store_b128 v59, v[36:39] offset:208
	ds_store_b128 v60, v[24:27]
	ds_store_b128 v60, v[40:43] offset:208
	;; [unrolled: 2-line block ×4, first 2 shown]
	s_and_saveexec_b32 s1, s0
	s_cbranch_execz .LBB0_19
; %bb.18:
	v_fma_f64 v[18:19], v[22:23], 2.0, -v[14:15]
	v_fma_f64 v[16:17], v[20:21], 2.0, -v[12:13]
	v_mul_lo_u16 v20, v55, 26
	s_delay_alu instid0(VALU_DEP_1) | instskip(NEXT) | instid1(VALU_DEP_1)
	v_and_b32_e32 v20, 0xffff, v20
	v_lshlrev_b32_e32 v20, 4, v20
	s_delay_alu instid0(VALU_DEP_1)
	v_add3_u32 v20, 0, v58, v20
	ds_store_b128 v20, v[16:19]
	ds_store_b128 v20, v[12:15] offset:208
.LBB0_19:
	s_wait_alu 0xfffe
	s_or_b32 exec_lo, exec_lo, s1
	v_lshrrev_b16 v75, 11, v54
	v_lshrrev_b32_e32 v90, 19, v53
	v_lshrrev_b32_e32 v91, 19, v52
	global_wb scope:SCOPE_SE
	s_wait_dscnt 0x0
	s_barrier_signal -1
	v_mul_lo_u16 v16, v75, 26
	v_mul_lo_u16 v17, v90, 26
	;; [unrolled: 1-line block ×3, first 2 shown]
	s_barrier_wait -1
	global_inv scope:SCOPE_SE
	v_sub_nc_u16 v16, v74, v16
	v_sub_nc_u16 v17, v57, v17
	s_mov_b32 s4, 0xe8584caa
	s_mov_b32 s5, 0xbfebb67a
	;; [unrolled: 1-line block ×3, first 2 shown]
	v_and_b32_e32 v92, 0xff, v16
	v_sub_nc_u16 v16, v56, v18
	v_and_b32_e32 v93, 0xffff, v17
	s_wait_alu 0xfffe
	s_mov_b32 s10, s4
	v_cmp_gt_u32_e64 s1, 52, v74
	v_lshlrev_b32_e32 v20, 5, v92
	v_and_b32_e32 v94, 0xffff, v16
	v_lshlrev_b32_e32 v28, 5, v93
	s_clause 0x1
	global_load_b128 v[16:19], v20, s[8:9] offset:208
	global_load_b128 v[20:23], v20, s[8:9] offset:224
	v_lshlrev_b32_e32 v36, 5, v94
	s_clause 0x3
	global_load_b128 v[24:27], v28, s[8:9] offset:208
	global_load_b128 v[28:31], v28, s[8:9] offset:224
	;; [unrolled: 1-line block ×4, first 2 shown]
	ds_load_b128 v[40:43], v246 offset:8736
	ds_load_b128 v[44:47], v246 offset:17472
	ds_load_b128 v[48:51], v246 offset:11648
	ds_load_b128 v[52:55], v246 offset:20384
	ds_load_b128 v[58:61], v246 offset:14560
	ds_load_b128 v[62:65], v246 offset:23296
	ds_load_b128 v[66:69], v246 offset:5824
	s_wait_loadcnt_dscnt 0x506
	v_mul_f64_e32 v[70:71], v[42:43], v[18:19]
	s_wait_loadcnt_dscnt 0x405
	v_mul_f64_e32 v[78:79], v[46:47], v[22:23]
	v_mul_f64_e32 v[18:19], v[40:41], v[18:19]
	v_mul_f64_e32 v[22:23], v[44:45], v[22:23]
	s_wait_loadcnt_dscnt 0x304
	v_mul_f64_e32 v[80:81], v[50:51], v[26:27]
	s_wait_loadcnt_dscnt 0x203
	v_mul_f64_e32 v[82:83], v[54:55], v[30:31]
	v_mul_f64_e32 v[26:27], v[48:49], v[26:27]
	v_mul_f64_e32 v[30:31], v[52:53], v[30:31]
	;; [unrolled: 6-line block ×3, first 2 shown]
	v_fma_f64 v[40:41], v[40:41], v[16:17], v[70:71]
	v_fma_f64 v[44:45], v[44:45], v[20:21], v[78:79]
	v_fma_f64 v[42:43], v[42:43], v[16:17], -v[18:19]
	v_fma_f64 v[46:47], v[46:47], v[20:21], -v[22:23]
	v_fma_f64 v[48:49], v[48:49], v[24:25], v[80:81]
	v_fma_f64 v[52:53], v[52:53], v[28:29], v[82:83]
	v_fma_f64 v[24:25], v[50:51], v[24:25], -v[26:27]
	v_fma_f64 v[30:31], v[54:55], v[28:29], -v[30:31]
	;; [unrolled: 4-line block ×3, first 2 shown]
	ds_load_b128 v[16:19], v246
	ds_load_b128 v[20:23], v246 offset:2912
	global_wb scope:SCOPE_SE
	s_wait_dscnt 0x0
	s_barrier_signal -1
	s_barrier_wait -1
	global_inv scope:SCOPE_SE
	v_add_f64_e32 v[62:63], v[16:17], v[40:41]
	v_add_f64_e32 v[32:33], v[40:41], v[44:45]
	v_add_f64_e64 v[84:85], v[40:41], -v[44:45]
	v_add_f64_e32 v[36:37], v[42:43], v[46:47]
	v_add_f64_e64 v[64:65], v[42:43], -v[46:47]
	v_add_f64_e32 v[38:39], v[48:49], v[52:53]
	v_add_f64_e32 v[42:43], v[18:19], v[42:43]
	;; [unrolled: 1-line block ×7, first 2 shown]
	v_add_f64_e64 v[86:87], v[24:25], -v[30:31]
	v_add_f64_e64 v[88:89], v[48:49], -v[52:53]
	v_add_f64_e32 v[80:81], v[66:67], v[26:27]
	v_add_f64_e32 v[82:83], v[68:69], v[28:29]
	;; [unrolled: 1-line block ×3, first 2 shown]
	v_fma_f64 v[16:17], v[32:33], -0.5, v[16:17]
	v_fma_f64 v[18:19], v[36:37], -0.5, v[18:19]
	;; [unrolled: 1-line block ×4, first 2 shown]
	v_add_f64_e64 v[54:55], v[28:29], -v[34:35]
	v_fma_f64 v[58:59], v[58:59], -0.5, v[66:67]
	v_add_f64_e64 v[66:67], v[26:27], -v[50:51]
	v_fma_f64 v[60:61], v[60:61], -0.5, v[68:69]
	v_add_f64_e32 v[26:27], v[42:43], v[46:47]
	v_add_f64_e32 v[28:29], v[70:71], v[52:53]
	;; [unrolled: 1-line block ×5, first 2 shown]
	v_and_b32_e32 v52, 0xffff, v75
	v_mul_u32_u24_e32 v53, 0x4e0, v90
	s_delay_alu instid0(VALU_DEP_2)
	v_mul_u32_u24_e32 v52, 0x4e0, v52
	v_fma_f64 v[36:37], v[64:65], s[4:5], v[16:17]
	s_wait_alu 0xfffe
	v_fma_f64 v[40:41], v[64:65], s[10:11], v[16:17]
	v_fma_f64 v[38:39], v[84:85], s[10:11], v[18:19]
	;; [unrolled: 1-line block ×11, first 2 shown]
	v_lshlrev_b32_e32 v55, 4, v92
	v_lshlrev_b32_e32 v58, 4, v93
	v_mul_u32_u24_e32 v54, 0x4e0, v91
	v_lshlrev_b32_e32 v59, 4, v94
	s_delay_alu instid0(VALU_DEP_4) | instskip(NEXT) | instid1(VALU_DEP_4)
	v_add3_u32 v52, 0, v52, v55
	v_add3_u32 v53, 0, v53, v58
	s_delay_alu instid0(VALU_DEP_3)
	v_add3_u32 v54, 0, v54, v59
	ds_store_b128 v52, v[24:27]
	ds_store_b128 v52, v[36:39] offset:416
	ds_store_b128 v52, v[40:43] offset:832
	ds_store_b128 v53, v[28:31]
	ds_store_b128 v53, v[44:47] offset:416
	ds_store_b128 v53, v[48:51] offset:832
	;; [unrolled: 3-line block ×3, first 2 shown]
	global_wb scope:SCOPE_SE
	s_wait_dscnt 0x0
	s_barrier_signal -1
	s_barrier_wait -1
	global_inv scope:SCOPE_SE
	ds_load_b128 v[28:31], v246
	ds_load_b128 v[48:51], v246 offset:3744
	ds_load_b128 v[44:47], v246 offset:7488
	;; [unrolled: 1-line block ×6, first 2 shown]
                                        ; implicit-def: $vgpr26_vgpr27
	s_and_saveexec_b32 s4, s1
	s_cbranch_execz .LBB0_21
; %bb.20:
	ds_load_b128 v[16:19], v246 offset:2912
	ds_load_b128 v[20:23], v246 offset:6656
	;; [unrolled: 1-line block ×7, first 2 shown]
.LBB0_21:
	s_wait_alu 0xfffe
	s_or_b32 exec_lo, exec_lo, s4
	v_lshrrev_b16 v58, 1, v74
	s_mov_b32 s10, 0x37e14327
	s_mov_b32 s12, 0xe976ee23
	;; [unrolled: 1-line block ×4, first 2 shown]
	v_and_b32_e32 v58, 0x7f, v58
	s_mov_b32 s4, 0x429ad128
	s_mov_b32 s5, 0xbfebfeb5
	;; [unrolled: 1-line block ×4, first 2 shown]
	v_mul_lo_u16 v58, 0xd3, v58
	s_mov_b32 s14, 0xaaaaaaaa
	s_mov_b32 s22, 0xb247c609
	;; [unrolled: 1-line block ×4, first 2 shown]
	v_lshrrev_b16 v75, 13, v58
	s_mov_b32 s23, 0xbfd5d0dc
	s_mov_b32 s17, 0x3fe77f67
	;; [unrolled: 1-line block ×4, first 2 shown]
	v_mul_lo_u16 v58, 0x4e, v75
	s_wait_alu 0xfffe
	s_mov_b32 s20, s16
	s_mov_b32 s24, s22
	;; [unrolled: 1-line block ×4, first 2 shown]
	v_sub_nc_u16 v58, v74, v58
	s_delay_alu instid0(VALU_DEP_1) | instskip(NEXT) | instid1(VALU_DEP_1)
	v_and_b32_e32 v100, 0xff, v58
	v_mul_u32_u24_e32 v58, 6, v100
	s_delay_alu instid0(VALU_DEP_1)
	v_lshlrev_b32_e32 v70, 4, v58
	s_clause 0x5
	global_load_b128 v[58:61], v70, s[8:9] offset:1040
	global_load_b128 v[62:65], v70, s[8:9] offset:1056
	;; [unrolled: 1-line block ×6, first 2 shown]
	global_wb scope:SCOPE_SE
	s_wait_loadcnt_dscnt 0x0
	s_barrier_signal -1
	s_barrier_wait -1
	global_inv scope:SCOPE_SE
	v_mul_f64_e32 v[70:71], v[50:51], v[60:61]
	v_mul_f64_e32 v[60:61], v[48:49], v[60:61]
	;; [unrolled: 1-line block ×12, first 2 shown]
	v_fma_f64 v[48:49], v[48:49], v[58:59], v[70:71]
	v_fma_f64 v[50:51], v[50:51], v[58:59], -v[60:61]
	v_fma_f64 v[44:45], v[44:45], v[62:63], v[90:91]
	v_fma_f64 v[46:47], v[46:47], v[62:63], -v[64:65]
	;; [unrolled: 2-line block ×6, first 2 shown]
	v_add_f64_e32 v[58:59], v[48:49], v[52:53]
	v_add_f64_e32 v[60:61], v[50:51], v[54:55]
	;; [unrolled: 1-line block ×4, first 2 shown]
	v_add_f64_e64 v[40:41], v[44:45], -v[40:41]
	v_add_f64_e64 v[42:43], v[46:47], -v[42:43]
	v_add_f64_e32 v[44:45], v[36:37], v[32:33]
	v_add_f64_e32 v[46:47], v[38:39], v[34:35]
	v_add_f64_e64 v[32:33], v[32:33], -v[36:37]
	v_add_f64_e64 v[34:35], v[34:35], -v[38:39]
	;; [unrolled: 1-line block ×4, first 2 shown]
	v_add_f64_e32 v[48:49], v[62:63], v[58:59]
	v_add_f64_e32 v[50:51], v[64:65], v[60:61]
	v_add_f64_e64 v[52:53], v[58:59], -v[44:45]
	v_add_f64_e64 v[54:55], v[60:61], -v[46:47]
	v_add_f64_e64 v[66:67], v[32:33], -v[40:41]
	v_add_f64_e64 v[68:69], v[34:35], -v[42:43]
	v_add_f64_e64 v[70:71], v[40:41], -v[36:37]
	v_add_f64_e64 v[78:79], v[42:43], -v[38:39]
	v_add_f64_e32 v[40:41], v[32:33], v[40:41]
	v_add_f64_e32 v[42:43], v[34:35], v[42:43]
	v_add_f64_e64 v[32:33], v[36:37], -v[32:33]
	v_add_f64_e64 v[34:35], v[38:39], -v[34:35]
	;; [unrolled: 1-line block ×4, first 2 shown]
	v_add_f64_e32 v[48:49], v[44:45], v[48:49]
	v_add_f64_e32 v[50:51], v[46:47], v[50:51]
	v_add_f64_e64 v[44:45], v[44:45], -v[62:63]
	v_add_f64_e64 v[46:47], v[46:47], -v[64:65]
	v_mul_f64_e32 v[52:53], s[10:11], v[52:53]
	v_mul_f64_e32 v[54:55], s[10:11], v[54:55]
	;; [unrolled: 1-line block ×6, first 2 shown]
	v_add_f64_e32 v[36:37], v[40:41], v[36:37]
	v_add_f64_e32 v[38:39], v[42:43], v[38:39]
	;; [unrolled: 1-line block ×4, first 2 shown]
	v_mul_f64_e32 v[62:63], s[18:19], v[44:45]
	v_mul_f64_e32 v[64:65], s[18:19], v[46:47]
	v_fma_f64 v[40:41], v[44:45], s[18:19], v[52:53]
	v_fma_f64 v[42:43], v[46:47], s[18:19], v[54:55]
	;; [unrolled: 1-line block ×4, first 2 shown]
	v_fma_f64 v[66:67], v[70:71], s[4:5], -v[66:67]
	v_fma_f64 v[68:69], v[78:79], s[4:5], -v[68:69]
	s_wait_alu 0xfffe
	v_fma_f64 v[32:33], v[32:33], s[24:25], -v[80:81]
	v_fma_f64 v[34:35], v[34:35], s[24:25], -v[82:83]
	;; [unrolled: 1-line block ×4, first 2 shown]
	v_fma_f64 v[48:49], v[48:49], s[14:15], v[28:29]
	v_fma_f64 v[50:51], v[50:51], s[14:15], v[30:31]
	v_fma_f64 v[58:59], v[58:59], s[16:17], -v[62:63]
	v_fma_f64 v[60:61], v[60:61], s[16:17], -v[64:65]
	v_fma_f64 v[62:63], v[36:37], s[26:27], v[44:45]
	v_fma_f64 v[64:65], v[38:39], s[26:27], v[46:47]
	;; [unrolled: 1-line block ×6, first 2 shown]
	v_add_f64_e32 v[70:71], v[40:41], v[48:49]
	v_add_f64_e32 v[78:79], v[42:43], v[50:51]
	;; [unrolled: 1-line block ×6, first 2 shown]
	v_and_b32_e32 v58, 0xffff, v75
	v_lshlrev_b32_e32 v59, 4, v100
	s_delay_alu instid0(VALU_DEP_2) | instskip(NEXT) | instid1(VALU_DEP_1)
	v_mul_u32_u24_e32 v58, 0x2220, v58
	v_add3_u32 v58, 0, v58, v59
	v_add_f64_e32 v[32:33], v[64:65], v[70:71]
	v_add_f64_e64 v[34:35], v[78:79], -v[62:63]
	v_add_f64_e32 v[36:37], v[68:69], v[52:53]
	v_add_f64_e64 v[38:39], v[54:55], -v[66:67]
	v_add_f64_e64 v[40:41], v[48:49], -v[44:45]
	v_add_f64_e32 v[42:43], v[46:47], v[50:51]
	v_add_f64_e32 v[44:45], v[44:45], v[48:49]
	v_add_f64_e64 v[46:47], v[50:51], -v[46:47]
	v_add_f64_e64 v[48:49], v[52:53], -v[68:69]
	v_add_f64_e32 v[50:51], v[66:67], v[54:55]
	v_add_f64_e64 v[52:53], v[70:71], -v[64:65]
	v_add_f64_e32 v[54:55], v[62:63], v[78:79]
	ds_store_b128 v58, v[28:31]
	ds_store_b128 v58, v[32:35] offset:1248
	ds_store_b128 v58, v[36:39] offset:2496
	ds_store_b128 v58, v[40:43] offset:3744
	ds_store_b128 v58, v[44:47] offset:4992
	ds_store_b128 v58, v[48:51] offset:6240
	ds_store_b128 v58, v[52:55] offset:7488
	s_and_saveexec_b32 s28, s1
	s_cbranch_execz .LBB0_23
; %bb.22:
	v_lshrrev_b16 v28, 1, v57
	s_delay_alu instid0(VALU_DEP_1) | instskip(NEXT) | instid1(VALU_DEP_1)
	v_and_b32_e32 v28, 0xffff, v28
	v_mul_u32_u24_e32 v28, 0x6907, v28
	s_delay_alu instid0(VALU_DEP_1) | instskip(NEXT) | instid1(VALU_DEP_1)
	v_lshrrev_b32_e32 v28, 20, v28
	v_mul_lo_u16 v28, 0x4e, v28
	s_delay_alu instid0(VALU_DEP_1) | instskip(NEXT) | instid1(VALU_DEP_1)
	v_sub_nc_u16 v28, v57, v28
	v_and_b32_e32 v66, 0xffff, v28
	s_delay_alu instid0(VALU_DEP_1) | instskip(NEXT) | instid1(VALU_DEP_1)
	v_mul_u32_u24_e32 v28, 6, v66
	v_lshlrev_b32_e32 v48, 4, v28
	s_clause 0x5
	global_load_b128 v[28:31], v48, s[8:9] offset:1056
	global_load_b128 v[32:35], v48, s[8:9] offset:1104
	;; [unrolled: 1-line block ×6, first 2 shown]
	s_wait_loadcnt 0x5
	v_mul_f64_e32 v[52:53], v[12:13], v[30:31]
	s_wait_loadcnt 0x4
	v_mul_f64_e32 v[54:55], v[0:1], v[34:35]
	;; [unrolled: 2-line block ×4, first 2 shown]
	v_mul_f64_e32 v[30:31], v[14:15], v[30:31]
	v_mul_f64_e32 v[34:35], v[2:3], v[34:35]
	;; [unrolled: 1-line block ×4, first 2 shown]
	s_wait_loadcnt 0x1
	v_mul_f64_e32 v[62:63], v[10:11], v[46:47]
	s_wait_loadcnt 0x0
	v_mul_f64_e32 v[64:65], v[6:7], v[50:51]
	v_mul_f64_e32 v[50:51], v[4:5], v[50:51]
	;; [unrolled: 1-line block ×3, first 2 shown]
	v_fma_f64 v[14:15], v[14:15], v[28:29], -v[52:53]
	v_fma_f64 v[2:3], v[2:3], v[32:33], -v[54:55]
	;; [unrolled: 1-line block ×4, first 2 shown]
	v_fma_f64 v[12:13], v[12:13], v[28:29], v[30:31]
	v_fma_f64 v[0:1], v[0:1], v[32:33], v[34:35]
	;; [unrolled: 1-line block ×6, first 2 shown]
	v_fma_f64 v[6:7], v[6:7], v[48:49], -v[50:51]
	v_fma_f64 v[10:11], v[10:11], v[44:45], -v[46:47]
	v_add_f64_e32 v[28:29], v[14:15], v[2:3]
	v_add_f64_e64 v[2:3], v[14:15], -v[2:3]
	v_add_f64_e32 v[30:31], v[22:23], v[26:27]
	v_add_f64_e32 v[32:33], v[12:13], v[0:1]
	v_add_f64_e64 v[0:1], v[12:13], -v[0:1]
	v_add_f64_e32 v[34:35], v[20:21], v[24:25]
	v_add_f64_e64 v[36:37], v[8:9], -v[4:5]
	v_add_f64_e32 v[4:5], v[4:5], v[8:9]
	v_add_f64_e32 v[12:13], v[6:7], v[10:11]
	v_add_f64_e64 v[8:9], v[20:21], -v[24:25]
	v_add_f64_e64 v[6:7], v[10:11], -v[6:7]
	;; [unrolled: 1-line block ×3, first 2 shown]
	v_add_f64_e32 v[20:21], v[28:29], v[30:31]
	v_add_f64_e32 v[14:15], v[32:33], v[34:35]
	v_add_f64_e64 v[22:23], v[36:37], -v[0:1]
	v_add_f64_e64 v[26:27], v[34:35], -v[4:5]
	v_add_f64_e64 v[24:25], v[30:31], -v[12:13]
	v_add_f64_e64 v[38:39], v[0:1], -v[8:9]
	v_add_f64_e64 v[40:41], v[6:7], -v[2:3]
	v_add_f64_e64 v[42:43], v[2:3], -v[10:11]
	v_add_f64_e32 v[44:45], v[36:37], v[0:1]
	v_add_f64_e64 v[36:37], v[8:9], -v[36:37]
	v_add_f64_e32 v[46:47], v[6:7], v[2:3]
	v_add_f64_e64 v[6:7], v[10:11], -v[6:7]
	;; [unrolled: 2-line block ×4, first 2 shown]
	v_mul_f64_e32 v[22:23], s[12:13], v[22:23]
	v_mul_f64_e32 v[26:27], s[10:11], v[26:27]
	;; [unrolled: 1-line block ×4, first 2 shown]
	v_add_f64_e32 v[8:9], v[44:45], v[8:9]
	v_add_f64_e32 v[10:11], v[46:47], v[10:11]
	;; [unrolled: 1-line block ×3, first 2 shown]
	v_add_f64_e64 v[18:19], v[28:29], -v[30:31]
	v_mul_f64_e32 v[28:29], s[18:19], v[12:13]
	v_mul_f64_e32 v[30:31], s[12:13], v[40:41]
	v_add_f64_e32 v[0:1], v[16:17], v[14:15]
	v_mul_f64_e32 v[40:41], s[4:5], v[42:43]
	v_add_f64_e64 v[16:17], v[32:33], -v[34:35]
	v_mul_f64_e32 v[32:33], s[18:19], v[4:5]
	v_fma_f64 v[34:35], v[36:37], s[22:23], v[22:23]
	v_fma_f64 v[12:13], v[12:13], s[18:19], v[24:25]
	;; [unrolled: 1-line block ×3, first 2 shown]
	v_fma_f64 v[36:37], v[36:37], s[24:25], -v[48:49]
	v_fma_f64 v[22:23], v[38:39], s[4:5], -v[22:23]
	v_fma_f64 v[20:21], v[20:21], s[14:15], v[2:3]
	v_fma_f64 v[24:25], v[18:19], s[20:21], -v[24:25]
	v_fma_f64 v[18:19], v[18:19], s[16:17], -v[28:29]
	v_fma_f64 v[28:29], v[6:7], s[22:23], v[30:31]
	v_fma_f64 v[14:15], v[14:15], s[14:15], v[0:1]
	v_fma_f64 v[6:7], v[6:7], s[24:25], -v[40:41]
	v_fma_f64 v[26:27], v[16:17], s[20:21], -v[26:27]
	;; [unrolled: 1-line block ×4, first 2 shown]
	v_fma_f64 v[32:33], v[8:9], s[26:27], v[34:35]
	v_fma_f64 v[34:35], v[8:9], s[26:27], v[36:37]
	;; [unrolled: 1-line block ×3, first 2 shown]
	v_add_f64_e32 v[12:13], v[12:13], v[20:21]
	v_add_f64_e32 v[22:23], v[24:25], v[20:21]
	;; [unrolled: 1-line block ×3, first 2 shown]
	v_fma_f64 v[28:29], v[10:11], s[26:27], v[28:29]
	v_add_f64_e32 v[4:5], v[4:5], v[14:15]
	v_fma_f64 v[36:37], v[10:11], s[26:27], v[6:7]
	v_add_f64_e32 v[38:39], v[26:27], v[14:15]
	;; [unrolled: 2-line block ×3, first 2 shown]
	v_add_f64_e64 v[26:27], v[12:13], -v[32:33]
	v_add_f64_e32 v[10:11], v[34:35], v[22:23]
	v_add_f64_e64 v[22:23], v[22:23], -v[34:35]
	v_add_f64_e64 v[14:15], v[18:19], -v[8:9]
	v_add_f64_e32 v[24:25], v[28:29], v[4:5]
	v_add_f64_e32 v[18:19], v[8:9], v[18:19]
	;; [unrolled: 1-line block ×4, first 2 shown]
	v_add_f64_e64 v[16:17], v[40:41], -v[30:31]
	v_add_f64_e32 v[12:13], v[30:31], v[40:41]
	v_add_f64_e64 v[8:9], v[38:39], -v[36:37]
	v_add_f64_e64 v[4:5], v[4:5], -v[28:29]
	v_lshl_add_u32 v28, v66, 4, 0
	ds_store_b128 v28, v[0:3] offset:17472
	ds_store_b128 v28, v[24:27] offset:18720
	;; [unrolled: 1-line block ×7, first 2 shown]
.LBB0_23:
	s_wait_alu 0xfffe
	s_or_b32 exec_lo, exec_lo, s28
	v_dual_mov_b32 v1, 0 :: v_dual_lshlrev_b32 v0, 1, v74
	global_wb scope:SCOPE_SE
	s_wait_dscnt 0x0
	s_barrier_signal -1
	s_barrier_wait -1
	global_inv scope:SCOPE_SE
	v_lshlrev_b64_e32 v[2:3], 4, v[0:1]
	v_lshlrev_b32_e32 v0, 1, v57
	s_mov_b32 s4, 0xe8584caa
	s_mov_b32 s5, 0xbfebb67a
	;; [unrolled: 1-line block ×3, first 2 shown]
	s_wait_alu 0xfffe
	s_mov_b32 s10, s4
	v_lshlrev_b64_e32 v[10:11], 4, v[0:1]
	v_lshlrev_b32_e32 v0, 1, v56
	v_add_co_u32 v6, s1, s8, v2
	s_wait_alu 0xf1ff
	v_add_co_ci_u32_e64 v7, s1, s9, v3, s1
	s_delay_alu instid0(VALU_DEP_3)
	v_lshlrev_b64_e32 v[12:13], 4, v[0:1]
	v_add_co_u32 v14, s1, s8, v10
	s_wait_alu 0xf1ff
	v_add_co_ci_u32_e64 v15, s1, s9, v11, s1
	s_clause 0x1
	global_load_b128 v[2:5], v[6:7], off offset:8544
	global_load_b128 v[6:9], v[6:7], off offset:8528
	v_add_co_u32 v22, s1, s8, v12
	s_wait_alu 0xf1ff
	v_add_co_ci_u32_e64 v23, s1, s9, v13, s1
	s_clause 0x3
	global_load_b128 v[10:13], v[14:15], off offset:8528
	global_load_b128 v[14:17], v[14:15], off offset:8544
	;; [unrolled: 1-line block ×4, first 2 shown]
	ds_load_b128 v[26:29], v246 offset:8736
	ds_load_b128 v[30:33], v246 offset:17472
	ds_load_b128 v[34:37], v246 offset:11648
	ds_load_b128 v[38:41], v246 offset:20384
	ds_load_b128 v[42:45], v246 offset:14560
	ds_load_b128 v[46:49], v246 offset:23296
	ds_load_b128 v[50:53], v246 offset:5824
	v_lshlrev_b32_e32 v0, 4, v74
	s_wait_loadcnt_dscnt 0x505
	v_mul_f64_e32 v[56:57], v[32:33], v[4:5]
	s_wait_loadcnt 0x4
	v_mul_f64_e32 v[54:55], v[28:29], v[8:9]
	v_mul_f64_e32 v[8:9], v[26:27], v[8:9]
	;; [unrolled: 1-line block ×3, first 2 shown]
	s_wait_loadcnt_dscnt 0x304
	v_mul_f64_e32 v[58:59], v[36:37], v[12:13]
	s_wait_loadcnt_dscnt 0x203
	v_mul_f64_e32 v[60:61], v[40:41], v[16:17]
	v_mul_f64_e32 v[12:13], v[34:35], v[12:13]
	;; [unrolled: 1-line block ×3, first 2 shown]
	s_wait_loadcnt_dscnt 0x102
	v_mul_f64_e32 v[62:63], v[44:45], v[20:21]
	s_wait_loadcnt_dscnt 0x1
	v_mul_f64_e32 v[64:65], v[48:49], v[24:25]
	v_mul_f64_e32 v[20:21], v[42:43], v[20:21]
	;; [unrolled: 1-line block ×3, first 2 shown]
	v_fma_f64 v[30:31], v[30:31], v[2:3], v[56:57]
	v_fma_f64 v[26:27], v[26:27], v[6:7], v[54:55]
	v_fma_f64 v[28:29], v[28:29], v[6:7], -v[8:9]
	v_fma_f64 v[32:33], v[32:33], v[2:3], -v[4:5]
	v_fma_f64 v[34:35], v[34:35], v[10:11], v[58:59]
	v_fma_f64 v[38:39], v[38:39], v[14:15], v[60:61]
	v_fma_f64 v[10:11], v[36:37], v[10:11], -v[12:13]
	v_fma_f64 v[12:13], v[40:41], v[14:15], -v[16:17]
	;; [unrolled: 4-line block ×3, first 2 shown]
	ds_load_b128 v[2:5], v246
	ds_load_b128 v[6:9], v246 offset:2912
	global_wb scope:SCOPE_SE
	s_wait_dscnt 0x0
	s_barrier_signal -1
	s_barrier_wait -1
	global_inv scope:SCOPE_SE
	v_add_f64_e32 v[22:23], v[26:27], v[30:31]
	v_add_f64_e32 v[46:47], v[2:3], v[26:27]
	;; [unrolled: 1-line block ×3, first 2 shown]
	v_add_f64_e64 v[48:49], v[28:29], -v[32:33]
	v_add_f64_e32 v[36:37], v[34:35], v[38:39]
	v_add_f64_e32 v[28:29], v[4:5], v[28:29]
	v_add_f64_e32 v[40:41], v[10:11], v[12:13]
	v_add_f64_e32 v[54:55], v[6:7], v[34:35]
	v_add_f64_e32 v[42:43], v[14:15], v[16:17]
	v_add_f64_e32 v[56:57], v[8:9], v[10:11]
	v_add_f64_e32 v[44:45], v[18:19], v[20:21]
	v_add_f64_e32 v[58:59], v[50:51], v[14:15]
	v_add_f64_e64 v[26:27], v[26:27], -v[30:31]
	v_add_f64_e32 v[60:61], v[52:53], v[18:19]
	v_add_f64_e64 v[62:63], v[10:11], -v[12:13]
	v_add_f64_e64 v[34:35], v[34:35], -v[38:39]
	;; [unrolled: 1-line block ×3, first 2 shown]
	v_fma_f64 v[22:23], v[22:23], -0.5, v[2:3]
	v_add_f64_e32 v[2:3], v[46:47], v[30:31]
	v_fma_f64 v[24:25], v[24:25], -0.5, v[4:5]
	v_fma_f64 v[36:37], v[36:37], -0.5, v[6:7]
	v_add_f64_e32 v[4:5], v[28:29], v[32:33]
	v_fma_f64 v[40:41], v[40:41], -0.5, v[8:9]
	v_add_f64_e32 v[6:7], v[54:55], v[38:39]
	v_fma_f64 v[42:43], v[42:43], -0.5, v[50:51]
	v_add_f64_e64 v[50:51], v[14:15], -v[16:17]
	v_fma_f64 v[44:45], v[44:45], -0.5, v[52:53]
	v_add_f64_e32 v[8:9], v[56:57], v[12:13]
	v_add_f64_e32 v[10:11], v[58:59], v[16:17]
	;; [unrolled: 1-line block ×3, first 2 shown]
	v_fma_f64 v[14:15], v[48:49], s[4:5], v[22:23]
	s_wait_alu 0xfffe
	v_fma_f64 v[18:19], v[48:49], s[10:11], v[22:23]
	v_fma_f64 v[16:17], v[26:27], s[10:11], v[24:25]
	;; [unrolled: 1-line block ×11, first 2 shown]
	s_mov_b32 s4, exec_lo
	ds_store_b128 v246, v[2:5]
	ds_store_b128 v246, v[6:9] offset:2912
	ds_store_b128 v246, v[14:17] offset:8736
	;; [unrolled: 1-line block ×8, first 2 shown]
	global_wb scope:SCOPE_SE
	s_wait_dscnt 0x0
	s_barrier_signal -1
	s_barrier_wait -1
	global_inv scope:SCOPE_SE
	ds_load_b128 v[4:7], v246
	v_sub_nc_u32_e32 v12, 0, v0
                                        ; implicit-def: $vgpr2_vgpr3
                                        ; implicit-def: $vgpr8_vgpr9
                                        ; implicit-def: $vgpr10_vgpr11
	v_cmpx_ne_u32_e32 0, v74
	s_wait_alu 0xfffe
	s_xor_b32 s4, exec_lo, s4
	s_cbranch_execz .LBB0_25
; %bb.24:
	v_mov_b32_e32 v75, v1
	s_delay_alu instid0(VALU_DEP_1) | instskip(NEXT) | instid1(VALU_DEP_1)
	v_lshlrev_b64_e32 v[0:1], 4, v[74:75]
	v_add_co_u32 v0, s1, s8, v0
	s_wait_alu 0xf1ff
	s_delay_alu instid0(VALU_DEP_2)
	v_add_co_ci_u32_e64 v1, s1, s9, v1, s1
	global_load_b128 v[13:16], v[0:1], off offset:26000
	ds_load_b128 v[0:3], v12 offset:26208
	s_wait_dscnt 0x0
	v_add_f64_e64 v[8:9], v[4:5], -v[0:1]
	v_add_f64_e32 v[10:11], v[6:7], v[2:3]
	v_add_f64_e64 v[2:3], v[6:7], -v[2:3]
	v_add_f64_e32 v[0:1], v[4:5], v[0:1]
	s_delay_alu instid0(VALU_DEP_4) | instskip(NEXT) | instid1(VALU_DEP_4)
	v_mul_f64_e32 v[6:7], 0.5, v[8:9]
	v_mul_f64_e32 v[4:5], 0.5, v[10:11]
	s_delay_alu instid0(VALU_DEP_4) | instskip(SKIP_1) | instid1(VALU_DEP_3)
	v_mul_f64_e32 v[2:3], 0.5, v[2:3]
	s_wait_loadcnt 0x0
	v_mul_f64_e32 v[8:9], v[6:7], v[15:16]
	s_delay_alu instid0(VALU_DEP_2) | instskip(SKIP_1) | instid1(VALU_DEP_3)
	v_fma_f64 v[10:11], v[4:5], v[15:16], v[2:3]
	v_fma_f64 v[2:3], v[4:5], v[15:16], -v[2:3]
	v_fma_f64 v[17:18], v[0:1], 0.5, v[8:9]
	v_fma_f64 v[0:1], v[0:1], 0.5, -v[8:9]
	s_delay_alu instid0(VALU_DEP_4) | instskip(NEXT) | instid1(VALU_DEP_4)
	v_fma_f64 v[8:9], -v[13:14], v[6:7], v[10:11]
	v_fma_f64 v[2:3], -v[13:14], v[6:7], v[2:3]
	v_dual_mov_b32 v10, v74 :: v_dual_mov_b32 v11, v75
	v_fma_f64 v[15:16], v[4:5], v[13:14], v[17:18]
	v_fma_f64 v[0:1], -v[4:5], v[13:14], v[0:1]
                                        ; implicit-def: $vgpr4_vgpr5
	ds_store_b64 v246, v[15:16]
.LBB0_25:
	s_wait_alu 0xfffe
	s_and_not1_saveexec_b32 s1, s4
	s_cbranch_execz .LBB0_27
; %bb.26:
	s_wait_dscnt 0x0
	v_add_f64_e32 v[13:14], v[4:5], v[6:7]
	v_add_f64_e64 v[0:1], v[4:5], -v[6:7]
	v_mov_b32_e32 v6, 0
	v_mov_b32_e32 v8, 0
	v_dual_mov_b32 v9, 0 :: v_dual_mov_b32 v10, 0
	s_delay_alu instid0(VALU_DEP_2)
	v_mov_b32_e32 v2, v8
	ds_load_b64 v[4:5], v6 offset:13112
	v_mov_b32_e32 v11, 0
	v_mov_b32_e32 v3, v9
	s_wait_dscnt 0x0
	v_xor_b32_e32 v5, 0x80000000, v5
	ds_store_b64 v246, v[13:14]
	ds_store_b64 v6, v[4:5] offset:13112
.LBB0_27:
	s_wait_alu 0xfffe
	s_or_b32 exec_lo, exec_lo, s1
	s_wait_dscnt 0x0
	v_lshlrev_b64_e32 v[4:5], 4, v[10:11]
	s_add_nc_u64 s[4:5], s[8:9], 0x6590
	s_wait_alu 0xfffe
	s_delay_alu instid0(VALU_DEP_1) | instskip(SKIP_1) | instid1(VALU_DEP_2)
	v_add_co_u32 v4, s1, s4, v4
	s_wait_alu 0xf1ff
	v_add_co_ci_u32_e64 v5, s1, s5, v5, s1
	s_clause 0x1
	global_load_b128 v[13:16], v[4:5], off offset:2912
	global_load_b128 v[17:20], v[4:5], off offset:5824
	ds_store_b64 v246, v[8:9] offset:8
	ds_store_b128 v12, v[0:3] offset:26208
	ds_load_b128 v[0:3], v246 offset:2912
	ds_load_b128 v[6:9], v12 offset:23296
	s_wait_dscnt 0x0
	v_add_f64_e64 v[10:11], v[0:1], -v[6:7]
	v_add_f64_e32 v[21:22], v[2:3], v[8:9]
	v_add_f64_e64 v[2:3], v[2:3], -v[8:9]
	v_add_f64_e32 v[0:1], v[0:1], v[6:7]
	s_delay_alu instid0(VALU_DEP_4) | instskip(NEXT) | instid1(VALU_DEP_4)
	v_mul_f64_e32 v[8:9], 0.5, v[10:11]
	v_mul_f64_e32 v[10:11], 0.5, v[21:22]
	s_delay_alu instid0(VALU_DEP_4) | instskip(SKIP_1) | instid1(VALU_DEP_3)
	v_mul_f64_e32 v[2:3], 0.5, v[2:3]
	s_wait_loadcnt 0x1
	v_mul_f64_e32 v[6:7], v[8:9], v[15:16]
	s_delay_alu instid0(VALU_DEP_2) | instskip(SKIP_1) | instid1(VALU_DEP_3)
	v_fma_f64 v[21:22], v[10:11], v[15:16], v[2:3]
	v_fma_f64 v[15:16], v[10:11], v[15:16], -v[2:3]
	v_fma_f64 v[23:24], v[0:1], 0.5, v[6:7]
	v_fma_f64 v[6:7], v[0:1], 0.5, -v[6:7]
	s_delay_alu instid0(VALU_DEP_4) | instskip(NEXT) | instid1(VALU_DEP_4)
	v_fma_f64 v[2:3], -v[13:14], v[8:9], v[21:22]
	v_fma_f64 v[8:9], -v[13:14], v[8:9], v[15:16]
	s_delay_alu instid0(VALU_DEP_4) | instskip(NEXT) | instid1(VALU_DEP_4)
	v_fma_f64 v[0:1], v[10:11], v[13:14], v[23:24]
	v_fma_f64 v[6:7], -v[10:11], v[13:14], v[6:7]
	global_load_b128 v[13:16], v[4:5], off offset:8736
	ds_store_b128 v246, v[0:3] offset:2912
	ds_store_b128 v12, v[6:9] offset:23296
	ds_load_b128 v[0:3], v246 offset:5824
	ds_load_b128 v[6:9], v12 offset:20384
	s_wait_dscnt 0x0
	v_add_f64_e64 v[10:11], v[0:1], -v[6:7]
	v_add_f64_e32 v[21:22], v[2:3], v[8:9]
	v_add_f64_e64 v[2:3], v[2:3], -v[8:9]
	v_add_f64_e32 v[0:1], v[0:1], v[6:7]
	s_delay_alu instid0(VALU_DEP_4) | instskip(NEXT) | instid1(VALU_DEP_4)
	v_mul_f64_e32 v[8:9], 0.5, v[10:11]
	v_mul_f64_e32 v[10:11], 0.5, v[21:22]
	s_delay_alu instid0(VALU_DEP_4) | instskip(SKIP_1) | instid1(VALU_DEP_3)
	v_mul_f64_e32 v[2:3], 0.5, v[2:3]
	s_wait_loadcnt 0x1
	v_mul_f64_e32 v[6:7], v[8:9], v[19:20]
	s_delay_alu instid0(VALU_DEP_2) | instskip(SKIP_1) | instid1(VALU_DEP_3)
	v_fma_f64 v[21:22], v[10:11], v[19:20], v[2:3]
	v_fma_f64 v[19:20], v[10:11], v[19:20], -v[2:3]
	v_fma_f64 v[23:24], v[0:1], 0.5, v[6:7]
	v_fma_f64 v[6:7], v[0:1], 0.5, -v[6:7]
	s_delay_alu instid0(VALU_DEP_4) | instskip(NEXT) | instid1(VALU_DEP_4)
	v_fma_f64 v[2:3], -v[17:18], v[8:9], v[21:22]
	v_fma_f64 v[8:9], -v[17:18], v[8:9], v[19:20]
	s_delay_alu instid0(VALU_DEP_4) | instskip(NEXT) | instid1(VALU_DEP_4)
	v_fma_f64 v[0:1], v[10:11], v[17:18], v[23:24]
	v_fma_f64 v[6:7], -v[10:11], v[17:18], v[6:7]
	ds_store_b128 v246, v[0:3] offset:5824
	ds_store_b128 v12, v[6:9] offset:20384
	ds_load_b128 v[0:3], v246 offset:8736
	ds_load_b128 v[6:9], v12 offset:17472
	s_wait_dscnt 0x0
	v_add_f64_e64 v[10:11], v[0:1], -v[6:7]
	v_add_f64_e32 v[17:18], v[2:3], v[8:9]
	v_add_f64_e64 v[2:3], v[2:3], -v[8:9]
	v_add_f64_e32 v[0:1], v[0:1], v[6:7]
	s_delay_alu instid0(VALU_DEP_4) | instskip(NEXT) | instid1(VALU_DEP_4)
	v_mul_f64_e32 v[8:9], 0.5, v[10:11]
	v_mul_f64_e32 v[10:11], 0.5, v[17:18]
	s_delay_alu instid0(VALU_DEP_4) | instskip(SKIP_1) | instid1(VALU_DEP_3)
	v_mul_f64_e32 v[2:3], 0.5, v[2:3]
	s_wait_loadcnt 0x0
	v_mul_f64_e32 v[6:7], v[8:9], v[15:16]
	s_delay_alu instid0(VALU_DEP_2) | instskip(SKIP_1) | instid1(VALU_DEP_3)
	v_fma_f64 v[17:18], v[10:11], v[15:16], v[2:3]
	v_fma_f64 v[15:16], v[10:11], v[15:16], -v[2:3]
	v_fma_f64 v[19:20], v[0:1], 0.5, v[6:7]
	v_fma_f64 v[6:7], v[0:1], 0.5, -v[6:7]
	s_delay_alu instid0(VALU_DEP_4) | instskip(NEXT) | instid1(VALU_DEP_4)
	v_fma_f64 v[2:3], -v[13:14], v[8:9], v[17:18]
	v_fma_f64 v[8:9], -v[13:14], v[8:9], v[15:16]
	s_delay_alu instid0(VALU_DEP_4) | instskip(NEXT) | instid1(VALU_DEP_4)
	v_fma_f64 v[0:1], v[10:11], v[13:14], v[19:20]
	v_fma_f64 v[6:7], -v[10:11], v[13:14], v[6:7]
	ds_store_b128 v246, v[0:3] offset:8736
	ds_store_b128 v12, v[6:9] offset:17472
	s_and_saveexec_b32 s1, s0
	s_cbranch_execz .LBB0_29
; %bb.28:
	global_load_b128 v[0:3], v[4:5], off offset:11648
	ds_load_b128 v[4:7], v246 offset:11648
	ds_load_b128 v[8:11], v12 offset:14560
	s_wait_dscnt 0x0
	v_add_f64_e64 v[13:14], v[4:5], -v[8:9]
	v_add_f64_e32 v[15:16], v[6:7], v[10:11]
	v_add_f64_e64 v[6:7], v[6:7], -v[10:11]
	v_add_f64_e32 v[4:5], v[4:5], v[8:9]
	s_delay_alu instid0(VALU_DEP_4) | instskip(NEXT) | instid1(VALU_DEP_4)
	v_mul_f64_e32 v[10:11], 0.5, v[13:14]
	v_mul_f64_e32 v[13:14], 0.5, v[15:16]
	s_delay_alu instid0(VALU_DEP_4) | instskip(SKIP_1) | instid1(VALU_DEP_3)
	v_mul_f64_e32 v[6:7], 0.5, v[6:7]
	s_wait_loadcnt 0x0
	v_mul_f64_e32 v[8:9], v[10:11], v[2:3]
	s_delay_alu instid0(VALU_DEP_2) | instskip(SKIP_1) | instid1(VALU_DEP_3)
	v_fma_f64 v[15:16], v[13:14], v[2:3], v[6:7]
	v_fma_f64 v[2:3], v[13:14], v[2:3], -v[6:7]
	v_fma_f64 v[6:7], v[4:5], 0.5, v[8:9]
	v_fma_f64 v[17:18], v[4:5], 0.5, -v[8:9]
	s_delay_alu instid0(VALU_DEP_4) | instskip(NEXT) | instid1(VALU_DEP_4)
	v_fma_f64 v[4:5], -v[0:1], v[10:11], v[15:16]
	v_fma_f64 v[8:9], -v[0:1], v[10:11], v[2:3]
	s_delay_alu instid0(VALU_DEP_4) | instskip(NEXT) | instid1(VALU_DEP_4)
	v_fma_f64 v[2:3], v[13:14], v[0:1], v[6:7]
	v_fma_f64 v[6:7], -v[13:14], v[0:1], v[17:18]
	ds_store_b128 v246, v[2:5] offset:11648
	ds_store_b128 v12, v[6:9] offset:14560
.LBB0_29:
	s_wait_alu 0xfffe
	s_or_b32 exec_lo, exec_lo, s1
	global_wb scope:SCOPE_SE
	s_wait_dscnt 0x0
	s_barrier_signal -1
	s_barrier_wait -1
	global_inv scope:SCOPE_SE
	s_and_saveexec_b32 s0, vcc_lo
	s_cbranch_execz .LBB0_32
; %bb.30:
	v_mul_lo_u32 v2, s3, v76
	v_mul_lo_u32 v3, s2, v77
	v_mad_co_u64_u32 v[0:1], null, s2, v76, 0
	v_dual_mov_b32 v75, 0 :: v_dual_add_nc_u32 v12, 0xb6, v74
	v_lshlrev_b64_e32 v[10:11], 4, v[72:73]
	v_lshl_add_u32 v31, v74, 4, 0
	s_delay_alu instid0(VALU_DEP_3)
	v_dual_mov_b32 v13, v75 :: v_dual_add_nc_u32 v14, 0x16c, v74
	v_add3_u32 v1, v1, v3, v2
	v_lshlrev_b64_e32 v[16:17], 4, v[74:75]
	v_dual_mov_b32 v15, v75 :: v_dual_add_nc_u32 v24, 0x222, v74
	ds_load_b128 v[2:5], v31
	ds_load_b128 v[6:9], v31 offset:2912
	v_lshlrev_b64_e32 v[0:1], 4, v[0:1]
	v_lshlrev_b64_e32 v[18:19], 4, v[12:13]
	;; [unrolled: 1-line block ×3, first 2 shown]
	v_dual_mov_b32 v25, v75 :: v_dual_add_nc_u32 v26, 0x2d8, v74
	v_mov_b32_e32 v27, v75
	v_add_co_u32 v0, vcc_lo, s6, v0
	s_wait_alu 0xfffd
	v_add_co_ci_u32_e32 v1, vcc_lo, s7, v1, vcc_lo
	v_lshlrev_b64_e32 v[24:25], 4, v[24:25]
	s_delay_alu instid0(VALU_DEP_3) | instskip(SKIP_1) | instid1(VALU_DEP_3)
	v_add_co_u32 v0, vcc_lo, v0, v10
	s_wait_alu 0xfffd
	v_add_co_ci_u32_e32 v1, vcc_lo, v1, v11, vcc_lo
	v_add_nc_u32_e32 v30, 0x5b0, v74
	s_delay_alu instid0(VALU_DEP_3) | instskip(SKIP_1) | instid1(VALU_DEP_3)
	v_add_co_u32 v22, vcc_lo, v0, v16
	s_wait_alu 0xfffd
	v_add_co_ci_u32_e32 v23, vcc_lo, v1, v17, vcc_lo
	ds_load_b128 v[10:13], v31 offset:5824
	ds_load_b128 v[14:17], v31 offset:8736
	v_add_co_u32 v18, vcc_lo, v0, v18
	s_wait_alu 0xfffd
	v_add_co_ci_u32_e32 v19, vcc_lo, v1, v19, vcc_lo
	v_add_co_u32 v20, vcc_lo, v0, v20
	s_wait_alu 0xfffd
	v_add_co_ci_u32_e32 v21, vcc_lo, v1, v21, vcc_lo
	;; [unrolled: 3-line block ×3, first 2 shown]
	s_wait_dscnt 0x3
	global_store_b128 v[22:23], v[2:5], off
	s_wait_dscnt 0x2
	global_store_b128 v[18:19], v[6:9], off
	v_mov_b32_e32 v19, v75
	s_wait_dscnt 0x1
	global_store_b128 v[20:21], v[10:13], off
	s_wait_dscnt 0x0
	global_store_b128 v[24:25], v[14:17], off
	v_dual_mov_b32 v11, v75 :: v_dual_add_nc_u32 v10, 0x38e, v74
	v_add_nc_u32_e32 v12, 0x444, v74
	v_lshlrev_b64_e32 v[2:3], 4, v[26:27]
	v_dual_mov_b32 v13, v75 :: v_dual_add_nc_u32 v18, 0x4fa, v74
	s_delay_alu instid0(VALU_DEP_4) | instskip(NEXT) | instid1(VALU_DEP_3)
	v_lshlrev_b64_e32 v[10:11], 4, v[10:11]
	v_add_co_u32 v22, vcc_lo, v0, v2
	s_wait_alu 0xfffd
	s_delay_alu instid0(VALU_DEP_4) | instskip(NEXT) | instid1(VALU_DEP_3)
	v_add_co_ci_u32_e32 v23, vcc_lo, v1, v3, vcc_lo
	v_add_co_u32 v24, vcc_lo, v0, v10
	ds_load_b128 v[2:5], v31 offset:11648
	ds_load_b128 v[6:9], v31 offset:14560
	s_wait_alu 0xfffd
	v_add_co_ci_u32_e32 v25, vcc_lo, v1, v11, vcc_lo
	v_lshlrev_b64_e32 v[26:27], 4, v[12:13]
	ds_load_b128 v[10:13], v31 offset:17472
	ds_load_b128 v[14:17], v31 offset:20384
	v_lshlrev_b64_e32 v[28:29], 4, v[18:19]
	ds_load_b128 v[18:21], v31 offset:23296
	v_mov_b32_e32 v31, v75
	v_add_co_u32 v26, vcc_lo, v0, v26
	s_wait_alu 0xfffd
	v_add_co_ci_u32_e32 v27, vcc_lo, v1, v27, vcc_lo
	s_delay_alu instid0(VALU_DEP_3) | instskip(SKIP_3) | instid1(VALU_DEP_3)
	v_lshlrev_b64_e32 v[30:31], 4, v[30:31]
	v_add_co_u32 v28, vcc_lo, v0, v28
	s_wait_alu 0xfffd
	v_add_co_ci_u32_e32 v29, vcc_lo, v1, v29, vcc_lo
	v_add_co_u32 v30, vcc_lo, v0, v30
	s_wait_alu 0xfffd
	v_add_co_ci_u32_e32 v31, vcc_lo, v1, v31, vcc_lo
	v_cmp_eq_u32_e32 vcc_lo, 0xb5, v74
	s_wait_dscnt 0x4
	global_store_b128 v[22:23], v[2:5], off
	s_wait_dscnt 0x3
	global_store_b128 v[24:25], v[6:9], off
	;; [unrolled: 2-line block ×5, first 2 shown]
	s_and_b32 exec_lo, exec_lo, vcc_lo
	s_cbranch_execz .LBB0_32
; %bb.31:
	ds_load_b128 v[2:5], v75 offset:26208
	s_wait_dscnt 0x0
	global_store_b128 v[0:1], v[2:5], off offset:26208
.LBB0_32:
	s_nop 0
	s_sendmsg sendmsg(MSG_DEALLOC_VGPRS)
	s_endpgm
	.section	.rodata,"a",@progbits
	.p2align	6, 0x0
	.amdhsa_kernel fft_rtc_back_len1638_factors_13_2_3_7_3_wgs_182_tpt_182_halfLds_dp_op_CI_CI_unitstride_sbrr_R2C_dirReg
		.amdhsa_group_segment_fixed_size 0
		.amdhsa_private_segment_fixed_size 36
		.amdhsa_kernarg_size 104
		.amdhsa_user_sgpr_count 2
		.amdhsa_user_sgpr_dispatch_ptr 0
		.amdhsa_user_sgpr_queue_ptr 0
		.amdhsa_user_sgpr_kernarg_segment_ptr 1
		.amdhsa_user_sgpr_dispatch_id 0
		.amdhsa_user_sgpr_private_segment_size 0
		.amdhsa_wavefront_size32 1
		.amdhsa_uses_dynamic_stack 0
		.amdhsa_enable_private_segment 1
		.amdhsa_system_sgpr_workgroup_id_x 1
		.amdhsa_system_sgpr_workgroup_id_y 0
		.amdhsa_system_sgpr_workgroup_id_z 0
		.amdhsa_system_sgpr_workgroup_info 0
		.amdhsa_system_vgpr_workitem_id 0
		.amdhsa_next_free_vgpr 255
		.amdhsa_next_free_sgpr 48
		.amdhsa_reserve_vcc 1
		.amdhsa_float_round_mode_32 0
		.amdhsa_float_round_mode_16_64 0
		.amdhsa_float_denorm_mode_32 3
		.amdhsa_float_denorm_mode_16_64 3
		.amdhsa_fp16_overflow 0
		.amdhsa_workgroup_processor_mode 1
		.amdhsa_memory_ordered 1
		.amdhsa_forward_progress 0
		.amdhsa_round_robin_scheduling 0
		.amdhsa_exception_fp_ieee_invalid_op 0
		.amdhsa_exception_fp_denorm_src 0
		.amdhsa_exception_fp_ieee_div_zero 0
		.amdhsa_exception_fp_ieee_overflow 0
		.amdhsa_exception_fp_ieee_underflow 0
		.amdhsa_exception_fp_ieee_inexact 0
		.amdhsa_exception_int_div_zero 0
	.end_amdhsa_kernel
	.text
.Lfunc_end0:
	.size	fft_rtc_back_len1638_factors_13_2_3_7_3_wgs_182_tpt_182_halfLds_dp_op_CI_CI_unitstride_sbrr_R2C_dirReg, .Lfunc_end0-fft_rtc_back_len1638_factors_13_2_3_7_3_wgs_182_tpt_182_halfLds_dp_op_CI_CI_unitstride_sbrr_R2C_dirReg
                                        ; -- End function
	.section	.AMDGPU.csdata,"",@progbits
; Kernel info:
; codeLenInByte = 11760
; NumSgprs: 50
; NumVgprs: 255
; ScratchSize: 36
; MemoryBound: 0
; FloatMode: 240
; IeeeMode: 1
; LDSByteSize: 0 bytes/workgroup (compile time only)
; SGPRBlocks: 6
; VGPRBlocks: 31
; NumSGPRsForWavesPerEU: 50
; NumVGPRsForWavesPerEU: 255
; Occupancy: 5
; WaveLimiterHint : 1
; COMPUTE_PGM_RSRC2:SCRATCH_EN: 1
; COMPUTE_PGM_RSRC2:USER_SGPR: 2
; COMPUTE_PGM_RSRC2:TRAP_HANDLER: 0
; COMPUTE_PGM_RSRC2:TGID_X_EN: 1
; COMPUTE_PGM_RSRC2:TGID_Y_EN: 0
; COMPUTE_PGM_RSRC2:TGID_Z_EN: 0
; COMPUTE_PGM_RSRC2:TIDIG_COMP_CNT: 0
	.text
	.p2alignl 7, 3214868480
	.fill 96, 4, 3214868480
	.type	__hip_cuid_64c460cedc1e692b,@object ; @__hip_cuid_64c460cedc1e692b
	.section	.bss,"aw",@nobits
	.globl	__hip_cuid_64c460cedc1e692b
__hip_cuid_64c460cedc1e692b:
	.byte	0                               ; 0x0
	.size	__hip_cuid_64c460cedc1e692b, 1

	.ident	"AMD clang version 19.0.0git (https://github.com/RadeonOpenCompute/llvm-project roc-6.4.0 25133 c7fe45cf4b819c5991fe208aaa96edf142730f1d)"
	.section	".note.GNU-stack","",@progbits
	.addrsig
	.addrsig_sym __hip_cuid_64c460cedc1e692b
	.amdgpu_metadata
---
amdhsa.kernels:
  - .args:
      - .actual_access:  read_only
        .address_space:  global
        .offset:         0
        .size:           8
        .value_kind:     global_buffer
      - .offset:         8
        .size:           8
        .value_kind:     by_value
      - .actual_access:  read_only
        .address_space:  global
        .offset:         16
        .size:           8
        .value_kind:     global_buffer
      - .actual_access:  read_only
        .address_space:  global
        .offset:         24
        .size:           8
        .value_kind:     global_buffer
      - .actual_access:  read_only
        .address_space:  global
        .offset:         32
        .size:           8
        .value_kind:     global_buffer
      - .offset:         40
        .size:           8
        .value_kind:     by_value
      - .actual_access:  read_only
        .address_space:  global
        .offset:         48
        .size:           8
        .value_kind:     global_buffer
      - .actual_access:  read_only
        .address_space:  global
        .offset:         56
        .size:           8
        .value_kind:     global_buffer
      - .offset:         64
        .size:           4
        .value_kind:     by_value
      - .actual_access:  read_only
        .address_space:  global
        .offset:         72
        .size:           8
        .value_kind:     global_buffer
      - .actual_access:  read_only
        .address_space:  global
        .offset:         80
        .size:           8
        .value_kind:     global_buffer
      - .actual_access:  read_only
        .address_space:  global
        .offset:         88
        .size:           8
        .value_kind:     global_buffer
      - .actual_access:  write_only
        .address_space:  global
        .offset:         96
        .size:           8
        .value_kind:     global_buffer
    .group_segment_fixed_size: 0
    .kernarg_segment_align: 8
    .kernarg_segment_size: 104
    .language:       OpenCL C
    .language_version:
      - 2
      - 0
    .max_flat_workgroup_size: 182
    .name:           fft_rtc_back_len1638_factors_13_2_3_7_3_wgs_182_tpt_182_halfLds_dp_op_CI_CI_unitstride_sbrr_R2C_dirReg
    .private_segment_fixed_size: 36
    .sgpr_count:     50
    .sgpr_spill_count: 0
    .symbol:         fft_rtc_back_len1638_factors_13_2_3_7_3_wgs_182_tpt_182_halfLds_dp_op_CI_CI_unitstride_sbrr_R2C_dirReg.kd
    .uniform_work_group_size: 1
    .uses_dynamic_stack: false
    .vgpr_count:     255
    .vgpr_spill_count: 8
    .wavefront_size: 32
    .workgroup_processor_mode: 1
amdhsa.target:   amdgcn-amd-amdhsa--gfx1201
amdhsa.version:
  - 1
  - 2
...

	.end_amdgpu_metadata
